;; amdgpu-corpus repo=ROCm/rocSPARSE kind=compiled arch=gfx1250 opt=O3
	.amdgcn_target "amdgcn-amd-amdhsa--gfx1250"
	.amdhsa_code_object_version 6
	.section	.text._ZN9rocsparseL29bsrmmnn_small_blockdim_kernelILj64ELj8ELj2EiiffffEEv20rocsparse_direction_T3_S2_llNS_24const_host_device_scalarIT7_EEPKT2_PKS2_PKT4_PKT5_llS5_PT6_ll16rocsparse_order_21rocsparse_index_base_b,"axG",@progbits,_ZN9rocsparseL29bsrmmnn_small_blockdim_kernelILj64ELj8ELj2EiiffffEEv20rocsparse_direction_T3_S2_llNS_24const_host_device_scalarIT7_EEPKT2_PKS2_PKT4_PKT5_llS5_PT6_ll16rocsparse_order_21rocsparse_index_base_b,comdat
	.globl	_ZN9rocsparseL29bsrmmnn_small_blockdim_kernelILj64ELj8ELj2EiiffffEEv20rocsparse_direction_T3_S2_llNS_24const_host_device_scalarIT7_EEPKT2_PKS2_PKT4_PKT5_llS5_PT6_ll16rocsparse_order_21rocsparse_index_base_b ; -- Begin function _ZN9rocsparseL29bsrmmnn_small_blockdim_kernelILj64ELj8ELj2EiiffffEEv20rocsparse_direction_T3_S2_llNS_24const_host_device_scalarIT7_EEPKT2_PKS2_PKT4_PKT5_llS5_PT6_ll16rocsparse_order_21rocsparse_index_base_b
	.p2align	8
	.type	_ZN9rocsparseL29bsrmmnn_small_blockdim_kernelILj64ELj8ELj2EiiffffEEv20rocsparse_direction_T3_S2_llNS_24const_host_device_scalarIT7_EEPKT2_PKS2_PKT4_PKT5_llS5_PT6_ll16rocsparse_order_21rocsparse_index_base_b,@function
_ZN9rocsparseL29bsrmmnn_small_blockdim_kernelILj64ELj8ELj2EiiffffEEv20rocsparse_direction_T3_S2_llNS_24const_host_device_scalarIT7_EEPKT2_PKS2_PKT4_PKT5_llS5_PT6_ll16rocsparse_order_21rocsparse_index_base_b: ; @_ZN9rocsparseL29bsrmmnn_small_blockdim_kernelILj64ELj8ELj2EiiffffEEv20rocsparse_direction_T3_S2_llNS_24const_host_device_scalarIT7_EEPKT2_PKS2_PKT4_PKT5_llS5_PT6_ll16rocsparse_order_21rocsparse_index_base_b
; %bb.0:
	s_clause 0x2
	s_load_b96 s[16:18], s[0:1], 0x78
	s_load_b64 s[2:3], s[0:1], 0x20
	s_load_b64 s[24:25], s[0:1], 0x58
	s_wait_kmcnt 0x0
	s_bitcmp1_b32 s18, 0
	s_cselect_b32 s4, -1, 0
	s_delay_alu instid0(SALU_CYCLE_1)
	s_and_b32 vcc_lo, exec_lo, s4
	s_xor_b32 s4, s4, -1
	s_cbranch_vccnz .LBB0_2
; %bb.1:
	s_load_b32 s2, s[2:3], 0x0
.LBB0_2:
	s_and_not1_b32 vcc_lo, exec_lo, s4
	s_cbranch_vccnz .LBB0_4
; %bb.3:
	s_load_b32 s24, s[24:25], 0x0
.LBB0_4:
	s_wait_kmcnt 0x0
	s_cmp_eq_f32 s2, 0
	s_mov_b32 s5, 0
	s_cselect_b32 s3, -1, 0
	s_cmp_eq_f32 s24, 1.0
	s_cselect_b32 s4, -1, 0
	s_delay_alu instid0(SALU_CYCLE_1) | instskip(NEXT) | instid1(SALU_CYCLE_1)
	s_and_b32 s3, s3, s4
	s_and_b32 vcc_lo, exec_lo, s3
	s_cbranch_vccnz .LBB0_28
; %bb.5:
	s_load_b32 s3, s[0:1], 0x88
	s_bfe_u32 s4, ttmp6, 0x4000c
	s_and_b32 s7, ttmp6, 15
	s_add_co_i32 s4, s4, 1
	s_getreg_b32 s6, hwreg(HW_REG_IB_STS2, 6, 4)
	s_mul_i32 s4, ttmp9, s4
	s_add_nc_u64 s[8:9], s[0:1], 0x88
	s_add_co_i32 s7, s7, s4
	s_cmp_eq_u32 s6, 0
	s_cselect_b32 s7, ttmp9, s7
	s_wait_kmcnt 0x0
	s_cmp_lt_u32 s7, s3
	s_cselect_b32 s4, 12, 18
	s_delay_alu instid0(SALU_CYCLE_1)
	s_add_nc_u64 s[8:9], s[8:9], s[4:5]
	s_mov_b32 s5, exec_lo
	s_load_u16 s4, s[8:9], 0x0
	s_load_b96 s[20:22], s[0:1], 0x0
	s_wait_kmcnt 0x0
	v_mad_u32 v1, s7, s4, v0
	s_delay_alu instid0(VALU_DEP_1) | instskip(NEXT) | instid1(VALU_DEP_1)
	v_lshrrev_b32_e32 v2, 4, v1
	v_cmpx_gt_i32_e64 s21, v2
	s_cbranch_execz .LBB0_28
; %bb.6:
	s_bfe_u32 s5, ttmp6, 0x40010
	s_load_b128 s[12:15], s[0:1], 0x60
	s_add_co_i32 s5, s5, 1
	s_mul_i32 s3, s3, s4
	s_mul_i32 s7, ttmp7, s5
	s_bfe_u32 s8, ttmp6, 0x40004
	v_dual_mov_b32 v3, 0 :: v_dual_bitop2_b32 v10, 7, v1 bitop3:0x40
	s_lshr_b32 s3, s3, 4
	s_add_co_i32 s8, s8, s7
	s_cmp_eq_u32 s6, 0
	s_load_b64 s[4:5], s[0:1], 0x48
	s_cselect_b32 s6, ttmp7, s8
	v_dual_mov_b32 v7, v3 :: v_dual_lshrrev_b32 v0, 3, v0
	v_lshl_or_b32 v4, s6, 3, v10
	v_lshrrev_b32_e32 v6, 3, v1
	v_bfe_u32 v14, v1, 3, 1
	v_mul_u32_u24_e32 v20, 12, v10
	v_lshl_or_b32 v11, v0, 5, 0x300
	v_ashrrev_i32_e32 v5, 31, v4
	s_wait_kmcnt 0x0
	v_mul_u64_e32 v[16:17], s[14:15], v[6:7]
	v_dual_lshlrev_b32 v21, 1, v14 :: v_dual_bitop2_b32 v15, 2, v14 bitop3:0x54
	v_lshlrev_b32_e32 v6, 2, v6
	v_mul_u64_e32 v[8:9], s[14:15], v[4:5]
	v_mul_u32_u24_e32 v12, 0x60, v0
	s_cmp_eq_u32 s20, 0
	v_or_b32_e32 v22, 1, v21
	v_lshl_add_u64 v[0:1], v[4:5], 2, s[12:13]
	s_cselect_b32 vcc_lo, -1, 0
	v_mul_u64_e32 v[18:19], s[4:5], v[4:5]
	s_load_b256 s[4:11], s[0:1], 0x28
	s_cmp_neq_f32 s24, 0
	v_lshl_or_b32 v13, v10, 2, v11
	v_dual_cndmask_b32 v14, v14, v21 :: v_dual_cndmask_b32 v15, v15, v22
	s_wait_xcnt 0x0
	v_cmp_gt_i32_e64 s0, s22, v4
	s_cselect_b32 s1, -1, 0
	s_cmp_lg_u32 s16, 1
	v_lshl_add_u64 v[0:1], v[16:17], 2, v[0:1]
	v_subrev_nc_u32_e32 v16, s17, v10
	v_add_nc_u32_e32 v17, v12, v20
	v_lshl_add_u64 v[8:9], v[8:9], 2, s[12:13]
	s_delay_alu instid0(VALU_DEP_1)
	v_add_nc_u64_e32 v[6:7], v[8:9], v[6:7]
	s_wait_kmcnt 0x0
	v_lshl_add_u64 v[4:5], v[18:19], 2, s[10:11]
	s_mov_b32 s10, 0
	s_cselect_b32 s11, -1, 0
	s_branch .LBB0_8
.LBB0_7:                                ;   in Loop: Header=BB0_8 Depth=1
	s_wait_xcnt 0x0
	s_or_b32 exec_lo, exec_lo, s12
	v_add_nc_u32_e32 v2, s3, v2
	s_delay_alu instid0(VALU_DEP_1) | instskip(SKIP_1) | instid1(SALU_CYCLE_1)
	v_cmp_le_i32_e32 vcc_lo, s21, v2
	s_or_b32 s10, vcc_lo, s10
	s_and_not1_b32 exec_lo, exec_lo, s10
	s_cbranch_execz .LBB0_28
.LBB0_8:                                ; =>This Loop Header: Depth=1
                                        ;     Child Loop BB0_11 Depth 2
	v_lshl_add_u64 v[8:9], v[2:3], 2, s[4:5]
	v_mov_b32_e32 v18, 0
	s_mov_b32 s12, exec_lo
	global_load_b64 v[8:9], v[8:9], off
	s_wait_loadcnt 0x0
	s_wait_xcnt 0x0
	v_cmpx_lt_i32_e64 v8, v9
	s_cbranch_execz .LBB0_16
; %bb.9:                                ;   in Loop: Header=BB0_8 Depth=1
	v_add_lshl_u32 v18, v16, v8, 2
	v_subrev_nc_u32_e32 v9, s17, v9
	v_subrev_nc_u32_e32 v8, s17, v8
	s_mov_b32 s13, 0
	s_delay_alu instid0(VALU_DEP_3)
	v_or_b32_e32 v19, v15, v18
	v_dual_mov_b32 v18, 0 :: v_dual_bitop2_b32 v20, v14, v18 bitop3:0x54
	s_branch .LBB0_11
.LBB0_10:                               ;   in Loop: Header=BB0_11 Depth=2
	s_or_b32 exec_lo, exec_lo, s14
	v_dual_add_nc_u32 v8, 8, v8 :: v_dual_add_nc_u32 v19, 32, v19
	v_add_nc_u32_e32 v20, 32, v20
	s_delay_alu instid0(VALU_DEP_2) | instskip(SKIP_1) | instid1(SALU_CYCLE_1)
	v_cmp_ge_i32_e32 vcc_lo, v8, v9
	s_or_b32 s13, vcc_lo, s13
	s_and_not1_b32 exec_lo, exec_lo, s13
	s_cbranch_execz .LBB0_15
.LBB0_11:                               ;   Parent Loop BB0_8 Depth=1
                                        ; =>  This Inner Loop Header: Depth=2
	v_dual_mov_b32 v23, 0 :: v_dual_add_nc_u32 v24, v10, v8
	v_dual_mov_b32 v21, 0 :: v_dual_mov_b32 v22, 0
	s_mov_b32 s14, exec_lo
	s_delay_alu instid0(VALU_DEP_2)
	v_cmpx_lt_i32_e64 v24, v9
	s_cbranch_execz .LBB0_13
; %bb.12:                               ;   in Loop: Header=BB0_11 Depth=2
	global_load_b32 v23, v24, s[6:7] scale_offset
	s_clause 0x1
	global_load_b32 v21, v20, s[8:9] scale_offset
	global_load_b32 v22, v19, s[8:9] scale_offset
	s_wait_loadcnt 0x2
	v_subrev_nc_u32_e32 v23, s17, v23
	s_delay_alu instid0(VALU_DEP_1)
	v_lshlrev_b32_e32 v23, 1, v23
.LBB0_13:                               ;   in Loop: Header=BB0_11 Depth=2
	s_wait_xcnt 0x0
	s_or_b32 exec_lo, exec_lo, s14
	ds_store_b32 v13, v23
	s_wait_loadcnt 0x0
	ds_store_2addr_b32 v17, v21, v22 offset1:1
	s_wait_dscnt 0x0
	s_barrier_signal -1
	s_barrier_wait -1
	s_and_saveexec_b32 s14, s0
	s_cbranch_execz .LBB0_10
; %bb.14:                               ;   in Loop: Header=BB0_11 Depth=2
	ds_load_b128 v[22:25], v11
	ds_load_b128 v[26:29], v11 offset:16
	s_wait_dscnt 0x1
	v_dual_mov_b32 v30, v22 :: v_dual_ashrrev_i32 v31, 31, v22
	v_dual_mov_b32 v32, v23 :: v_dual_ashrrev_i32 v33, 31, v23
	s_delay_alu instid0(VALU_DEP_2) | instskip(NEXT) | instid1(VALU_DEP_2)
	v_lshl_add_u64 v[30:31], v[30:31], 2, v[4:5]
	v_lshl_add_u64 v[22:23], v[32:33], 2, v[4:5]
	v_dual_mov_b32 v32, v24 :: v_dual_ashrrev_i32 v33, 31, v24
	global_load_b64 v[30:31], v[30:31], off
	s_wait_dscnt 0x0
	v_mov_b32_e32 v24, v26
	global_load_b64 v[34:35], v[22:23], off
	s_wait_xcnt 0x0
	v_lshl_add_u64 v[22:23], v[32:33], 2, v[4:5]
	global_load_b64 v[32:33], v[22:23], off
	s_wait_xcnt 0x0
	v_dual_mov_b32 v22, v25 :: v_dual_ashrrev_i32 v23, 31, v25
	v_ashrrev_i32_e32 v25, 31, v26
	s_delay_alu instid0(VALU_DEP_2)
	v_lshl_add_u64 v[22:23], v[22:23], 2, v[4:5]
	global_load_b64 v[36:37], v[22:23], off
	s_wait_xcnt 0x0
	v_lshl_add_u64 v[22:23], v[24:25], 2, v[4:5]
	v_dual_mov_b32 v24, v28 :: v_dual_ashrrev_i32 v25, 31, v28
	global_load_b64 v[38:39], v[22:23], off
	s_wait_xcnt 0x0
	v_dual_mov_b32 v22, v27 :: v_dual_ashrrev_i32 v23, 31, v27
	s_delay_alu instid0(VALU_DEP_1)
	v_lshl_add_u64 v[22:23], v[22:23], 2, v[4:5]
	global_load_b64 v[40:41], v[22:23], off
	s_wait_xcnt 0x0
	v_lshl_add_u64 v[22:23], v[24:25], 2, v[4:5]
	global_load_b64 v[42:43], v[22:23], off
	s_wait_xcnt 0x0
	v_dual_mov_b32 v22, v29 :: v_dual_ashrrev_i32 v23, 31, v29
	s_delay_alu instid0(VALU_DEP_1)
	v_lshl_add_u64 v[22:23], v[22:23], 2, v[4:5]
	global_load_b64 v[44:45], v[22:23], off
	s_wait_xcnt 0x0
	ds_load_2addr_b64 v[22:25], v12 offset1:3
	ds_load_2addr_b32 v[26:27], v12 offset0:3 offset1:4
	s_wait_loadcnt_dscnt 0x701
	v_fmac_f32_e32 v18, v22, v30
	s_delay_alu instid0(VALU_DEP_1)
	v_fmac_f32_e32 v18, v23, v31
	ds_load_2addr_b32 v[22:23], v12 offset0:9 offset1:10
	ds_load_2addr_b32 v[30:31], v12 offset0:15 offset1:16
	;; [unrolled: 1-line block ×3, first 2 shown]
	s_wait_loadcnt_dscnt 0x603
	v_fmac_f32_e32 v18, v26, v34
	s_delay_alu instid0(VALU_DEP_1) | instskip(SKIP_3) | instid1(VALU_DEP_1)
	v_fmac_f32_e32 v18, v27, v35
	ds_load_2addr_b64 v[26:29], v12 offset0:6 offset1:9
	s_wait_loadcnt 0x5
	v_fmac_f32_e32 v18, v24, v32
	v_fmac_f32_e32 v18, v25, v33
	s_wait_loadcnt_dscnt 0x403
	s_delay_alu instid0(VALU_DEP_1) | instskip(NEXT) | instid1(VALU_DEP_1)
	v_fmac_f32_e32 v18, v22, v36
	v_fmac_f32_e32 v18, v23, v37
	s_wait_loadcnt_dscnt 0x300
	s_delay_alu instid0(VALU_DEP_1) | instskip(NEXT) | instid1(VALU_DEP_1)
	v_fmac_f32_e32 v18, v26, v38
	v_fmac_f32_e32 v18, v27, v39
	s_wait_loadcnt 0x2
	s_delay_alu instid0(VALU_DEP_1) | instskip(NEXT) | instid1(VALU_DEP_1)
	v_fmac_f32_e32 v18, v30, v40
	v_fmac_f32_e32 v18, v31, v41
	s_wait_loadcnt 0x1
	;; [unrolled: 4-line block ×3, first 2 shown]
	s_delay_alu instid0(VALU_DEP_1) | instskip(NEXT) | instid1(VALU_DEP_1)
	v_fmac_f32_e32 v18, v46, v44
	v_fmac_f32_e32 v18, v47, v45
	s_branch .LBB0_10
.LBB0_15:                               ;   in Loop: Header=BB0_8 Depth=1
	s_or_b32 exec_lo, exec_lo, s13
.LBB0_16:                               ;   in Loop: Header=BB0_8 Depth=1
	s_delay_alu instid0(SALU_CYCLE_1)
	s_or_b32 exec_lo, exec_lo, s12
	s_and_saveexec_b32 s12, s0
	s_cbranch_execz .LBB0_7
; %bb.17:                               ;   in Loop: Header=BB0_8 Depth=1
	v_mul_f32_e32 v8, s2, v18
	s_and_b32 vcc_lo, exec_lo, s1
	s_cbranch_vccz .LBB0_23
; %bb.18:                               ;   in Loop: Header=BB0_8 Depth=1
	s_and_b32 vcc_lo, exec_lo, s11
	s_mov_b32 s13, -1
	s_cbranch_vccz .LBB0_20
; %bb.19:                               ;   in Loop: Header=BB0_8 Depth=1
	global_load_b32 v9, v[0:1], off
	s_mov_b32 s13, 0
	s_wait_loadcnt 0x0
	v_fma_f32 v9, s24, v9, v8
	global_store_b32 v[0:1], v9, off
.LBB0_20:                               ;   in Loop: Header=BB0_8 Depth=1
	s_and_not1_b32 vcc_lo, exec_lo, s13
	s_cbranch_vccnz .LBB0_22
; %bb.21:                               ;   in Loop: Header=BB0_8 Depth=1
	global_load_b32 v9, v[6:7], off
	s_wait_loadcnt 0x0
	v_fma_f32 v9, s24, v9, v8
	global_store_b32 v[6:7], v9, off
.LBB0_22:                               ;   in Loop: Header=BB0_8 Depth=1
	s_cbranch_execnz .LBB0_7
	s_branch .LBB0_24
.LBB0_23:                               ;   in Loop: Header=BB0_8 Depth=1
.LBB0_24:                               ;   in Loop: Header=BB0_8 Depth=1
	s_and_b32 vcc_lo, exec_lo, s11
	s_mov_b32 s13, -1
	s_cbranch_vccz .LBB0_26
; %bb.25:                               ;   in Loop: Header=BB0_8 Depth=1
	s_mov_b32 s13, 0
	global_store_b32 v[0:1], v8, off
.LBB0_26:                               ;   in Loop: Header=BB0_8 Depth=1
	s_and_not1_b32 vcc_lo, exec_lo, s13
	s_cbranch_vccnz .LBB0_7
; %bb.27:                               ;   in Loop: Header=BB0_8 Depth=1
	global_store_b32 v[6:7], v8, off
	s_branch .LBB0_7
.LBB0_28:
	s_endpgm
	.section	.rodata,"a",@progbits
	.p2align	6, 0x0
	.amdhsa_kernel _ZN9rocsparseL29bsrmmnn_small_blockdim_kernelILj64ELj8ELj2EiiffffEEv20rocsparse_direction_T3_S2_llNS_24const_host_device_scalarIT7_EEPKT2_PKS2_PKT4_PKT5_llS5_PT6_ll16rocsparse_order_21rocsparse_index_base_b
		.amdhsa_group_segment_fixed_size 1024
		.amdhsa_private_segment_fixed_size 0
		.amdhsa_kernarg_size 392
		.amdhsa_user_sgpr_count 2
		.amdhsa_user_sgpr_dispatch_ptr 0
		.amdhsa_user_sgpr_queue_ptr 0
		.amdhsa_user_sgpr_kernarg_segment_ptr 1
		.amdhsa_user_sgpr_dispatch_id 0
		.amdhsa_user_sgpr_kernarg_preload_length 0
		.amdhsa_user_sgpr_kernarg_preload_offset 0
		.amdhsa_user_sgpr_private_segment_size 0
		.amdhsa_wavefront_size32 1
		.amdhsa_uses_dynamic_stack 0
		.amdhsa_enable_private_segment 0
		.amdhsa_system_sgpr_workgroup_id_x 1
		.amdhsa_system_sgpr_workgroup_id_y 1
		.amdhsa_system_sgpr_workgroup_id_z 0
		.amdhsa_system_sgpr_workgroup_info 0
		.amdhsa_system_vgpr_workitem_id 0
		.amdhsa_next_free_vgpr 48
		.amdhsa_next_free_sgpr 26
		.amdhsa_named_barrier_count 0
		.amdhsa_reserve_vcc 1
		.amdhsa_float_round_mode_32 0
		.amdhsa_float_round_mode_16_64 0
		.amdhsa_float_denorm_mode_32 3
		.amdhsa_float_denorm_mode_16_64 3
		.amdhsa_fp16_overflow 0
		.amdhsa_memory_ordered 1
		.amdhsa_forward_progress 1
		.amdhsa_inst_pref_size 12
		.amdhsa_round_robin_scheduling 0
		.amdhsa_exception_fp_ieee_invalid_op 0
		.amdhsa_exception_fp_denorm_src 0
		.amdhsa_exception_fp_ieee_div_zero 0
		.amdhsa_exception_fp_ieee_overflow 0
		.amdhsa_exception_fp_ieee_underflow 0
		.amdhsa_exception_fp_ieee_inexact 0
		.amdhsa_exception_int_div_zero 0
	.end_amdhsa_kernel
	.section	.text._ZN9rocsparseL29bsrmmnn_small_blockdim_kernelILj64ELj8ELj2EiiffffEEv20rocsparse_direction_T3_S2_llNS_24const_host_device_scalarIT7_EEPKT2_PKS2_PKT4_PKT5_llS5_PT6_ll16rocsparse_order_21rocsparse_index_base_b,"axG",@progbits,_ZN9rocsparseL29bsrmmnn_small_blockdim_kernelILj64ELj8ELj2EiiffffEEv20rocsparse_direction_T3_S2_llNS_24const_host_device_scalarIT7_EEPKT2_PKS2_PKT4_PKT5_llS5_PT6_ll16rocsparse_order_21rocsparse_index_base_b,comdat
.Lfunc_end0:
	.size	_ZN9rocsparseL29bsrmmnn_small_blockdim_kernelILj64ELj8ELj2EiiffffEEv20rocsparse_direction_T3_S2_llNS_24const_host_device_scalarIT7_EEPKT2_PKS2_PKT4_PKT5_llS5_PT6_ll16rocsparse_order_21rocsparse_index_base_b, .Lfunc_end0-_ZN9rocsparseL29bsrmmnn_small_blockdim_kernelILj64ELj8ELj2EiiffffEEv20rocsparse_direction_T3_S2_llNS_24const_host_device_scalarIT7_EEPKT2_PKS2_PKT4_PKT5_llS5_PT6_ll16rocsparse_order_21rocsparse_index_base_b
                                        ; -- End function
	.set _ZN9rocsparseL29bsrmmnn_small_blockdim_kernelILj64ELj8ELj2EiiffffEEv20rocsparse_direction_T3_S2_llNS_24const_host_device_scalarIT7_EEPKT2_PKS2_PKT4_PKT5_llS5_PT6_ll16rocsparse_order_21rocsparse_index_base_b.num_vgpr, 48
	.set _ZN9rocsparseL29bsrmmnn_small_blockdim_kernelILj64ELj8ELj2EiiffffEEv20rocsparse_direction_T3_S2_llNS_24const_host_device_scalarIT7_EEPKT2_PKS2_PKT4_PKT5_llS5_PT6_ll16rocsparse_order_21rocsparse_index_base_b.num_agpr, 0
	.set _ZN9rocsparseL29bsrmmnn_small_blockdim_kernelILj64ELj8ELj2EiiffffEEv20rocsparse_direction_T3_S2_llNS_24const_host_device_scalarIT7_EEPKT2_PKS2_PKT4_PKT5_llS5_PT6_ll16rocsparse_order_21rocsparse_index_base_b.numbered_sgpr, 26
	.set _ZN9rocsparseL29bsrmmnn_small_blockdim_kernelILj64ELj8ELj2EiiffffEEv20rocsparse_direction_T3_S2_llNS_24const_host_device_scalarIT7_EEPKT2_PKS2_PKT4_PKT5_llS5_PT6_ll16rocsparse_order_21rocsparse_index_base_b.num_named_barrier, 0
	.set _ZN9rocsparseL29bsrmmnn_small_blockdim_kernelILj64ELj8ELj2EiiffffEEv20rocsparse_direction_T3_S2_llNS_24const_host_device_scalarIT7_EEPKT2_PKS2_PKT4_PKT5_llS5_PT6_ll16rocsparse_order_21rocsparse_index_base_b.private_seg_size, 0
	.set _ZN9rocsparseL29bsrmmnn_small_blockdim_kernelILj64ELj8ELj2EiiffffEEv20rocsparse_direction_T3_S2_llNS_24const_host_device_scalarIT7_EEPKT2_PKS2_PKT4_PKT5_llS5_PT6_ll16rocsparse_order_21rocsparse_index_base_b.uses_vcc, 1
	.set _ZN9rocsparseL29bsrmmnn_small_blockdim_kernelILj64ELj8ELj2EiiffffEEv20rocsparse_direction_T3_S2_llNS_24const_host_device_scalarIT7_EEPKT2_PKS2_PKT4_PKT5_llS5_PT6_ll16rocsparse_order_21rocsparse_index_base_b.uses_flat_scratch, 0
	.set _ZN9rocsparseL29bsrmmnn_small_blockdim_kernelILj64ELj8ELj2EiiffffEEv20rocsparse_direction_T3_S2_llNS_24const_host_device_scalarIT7_EEPKT2_PKS2_PKT4_PKT5_llS5_PT6_ll16rocsparse_order_21rocsparse_index_base_b.has_dyn_sized_stack, 0
	.set _ZN9rocsparseL29bsrmmnn_small_blockdim_kernelILj64ELj8ELj2EiiffffEEv20rocsparse_direction_T3_S2_llNS_24const_host_device_scalarIT7_EEPKT2_PKS2_PKT4_PKT5_llS5_PT6_ll16rocsparse_order_21rocsparse_index_base_b.has_recursion, 0
	.set _ZN9rocsparseL29bsrmmnn_small_blockdim_kernelILj64ELj8ELj2EiiffffEEv20rocsparse_direction_T3_S2_llNS_24const_host_device_scalarIT7_EEPKT2_PKS2_PKT4_PKT5_llS5_PT6_ll16rocsparse_order_21rocsparse_index_base_b.has_indirect_call, 0
	.section	.AMDGPU.csdata,"",@progbits
; Kernel info:
; codeLenInByte = 1492
; TotalNumSgprs: 28
; NumVgprs: 48
; ScratchSize: 0
; MemoryBound: 0
; FloatMode: 240
; IeeeMode: 1
; LDSByteSize: 1024 bytes/workgroup (compile time only)
; SGPRBlocks: 0
; VGPRBlocks: 2
; NumSGPRsForWavesPerEU: 28
; NumVGPRsForWavesPerEU: 48
; NamedBarCnt: 0
; Occupancy: 16
; WaveLimiterHint : 0
; COMPUTE_PGM_RSRC2:SCRATCH_EN: 0
; COMPUTE_PGM_RSRC2:USER_SGPR: 2
; COMPUTE_PGM_RSRC2:TRAP_HANDLER: 0
; COMPUTE_PGM_RSRC2:TGID_X_EN: 1
; COMPUTE_PGM_RSRC2:TGID_Y_EN: 1
; COMPUTE_PGM_RSRC2:TGID_Z_EN: 0
; COMPUTE_PGM_RSRC2:TIDIG_COMP_CNT: 0
	.section	.text._ZN9rocsparseL29bsrmmnn_small_blockdim_kernelILj64ELj8ELj2EliffffEEv20rocsparse_direction_T3_S2_llNS_24const_host_device_scalarIT7_EEPKT2_PKS2_PKT4_PKT5_llS5_PT6_ll16rocsparse_order_21rocsparse_index_base_b,"axG",@progbits,_ZN9rocsparseL29bsrmmnn_small_blockdim_kernelILj64ELj8ELj2EliffffEEv20rocsparse_direction_T3_S2_llNS_24const_host_device_scalarIT7_EEPKT2_PKS2_PKT4_PKT5_llS5_PT6_ll16rocsparse_order_21rocsparse_index_base_b,comdat
	.globl	_ZN9rocsparseL29bsrmmnn_small_blockdim_kernelILj64ELj8ELj2EliffffEEv20rocsparse_direction_T3_S2_llNS_24const_host_device_scalarIT7_EEPKT2_PKS2_PKT4_PKT5_llS5_PT6_ll16rocsparse_order_21rocsparse_index_base_b ; -- Begin function _ZN9rocsparseL29bsrmmnn_small_blockdim_kernelILj64ELj8ELj2EliffffEEv20rocsparse_direction_T3_S2_llNS_24const_host_device_scalarIT7_EEPKT2_PKS2_PKT4_PKT5_llS5_PT6_ll16rocsparse_order_21rocsparse_index_base_b
	.p2align	8
	.type	_ZN9rocsparseL29bsrmmnn_small_blockdim_kernelILj64ELj8ELj2EliffffEEv20rocsparse_direction_T3_S2_llNS_24const_host_device_scalarIT7_EEPKT2_PKS2_PKT4_PKT5_llS5_PT6_ll16rocsparse_order_21rocsparse_index_base_b,@function
_ZN9rocsparseL29bsrmmnn_small_blockdim_kernelILj64ELj8ELj2EliffffEEv20rocsparse_direction_T3_S2_llNS_24const_host_device_scalarIT7_EEPKT2_PKS2_PKT4_PKT5_llS5_PT6_ll16rocsparse_order_21rocsparse_index_base_b: ; @_ZN9rocsparseL29bsrmmnn_small_blockdim_kernelILj64ELj8ELj2EliffffEEv20rocsparse_direction_T3_S2_llNS_24const_host_device_scalarIT7_EEPKT2_PKS2_PKT4_PKT5_llS5_PT6_ll16rocsparse_order_21rocsparse_index_base_b
; %bb.0:
	s_clause 0x2
	s_load_b96 s[16:18], s[0:1], 0x78
	s_load_b64 s[2:3], s[0:1], 0x20
	s_load_b64 s[24:25], s[0:1], 0x58
	s_wait_kmcnt 0x0
	s_bitcmp1_b32 s18, 0
	s_cselect_b32 s4, -1, 0
	s_delay_alu instid0(SALU_CYCLE_1)
	s_and_b32 vcc_lo, exec_lo, s4
	s_xor_b32 s4, s4, -1
	s_cbranch_vccnz .LBB1_2
; %bb.1:
	s_load_b32 s2, s[2:3], 0x0
.LBB1_2:
	s_and_not1_b32 vcc_lo, exec_lo, s4
	s_cbranch_vccnz .LBB1_4
; %bb.3:
	s_load_b32 s24, s[24:25], 0x0
.LBB1_4:
	s_wait_kmcnt 0x0
	s_cmp_eq_f32 s2, 0
	s_mov_b32 s5, 0
	s_cselect_b32 s3, -1, 0
	s_cmp_eq_f32 s24, 1.0
	s_cselect_b32 s4, -1, 0
	s_delay_alu instid0(SALU_CYCLE_1) | instskip(NEXT) | instid1(SALU_CYCLE_1)
	s_and_b32 s3, s3, s4
	s_and_b32 vcc_lo, exec_lo, s3
	s_cbranch_vccnz .LBB1_28
; %bb.5:
	s_load_b32 s3, s[0:1], 0x88
	s_bfe_u32 s4, ttmp6, 0x4000c
	s_and_b32 s7, ttmp6, 15
	s_add_co_i32 s4, s4, 1
	s_getreg_b32 s6, hwreg(HW_REG_IB_STS2, 6, 4)
	s_mul_i32 s4, ttmp9, s4
	s_add_nc_u64 s[8:9], s[0:1], 0x88
	s_add_co_i32 s7, s7, s4
	s_cmp_eq_u32 s6, 0
	s_cselect_b32 s7, ttmp9, s7
	s_wait_kmcnt 0x0
	s_cmp_lt_u32 s7, s3
	s_cselect_b32 s4, 12, 18
	s_delay_alu instid0(SALU_CYCLE_1)
	s_add_nc_u64 s[8:9], s[8:9], s[4:5]
	s_mov_b32 s5, exec_lo
	s_load_u16 s4, s[8:9], 0x0
	s_load_b96 s[20:22], s[0:1], 0x0
	s_wait_kmcnt 0x0
	v_mad_u32 v1, s7, s4, v0
	s_delay_alu instid0(VALU_DEP_1) | instskip(NEXT) | instid1(VALU_DEP_1)
	v_lshrrev_b32_e32 v4, 4, v1
	v_cmpx_gt_i32_e64 s21, v4
	s_cbranch_execz .LBB1_28
; %bb.6:
	s_mul_i32 s3, s3, s4
	s_bfe_u32 s4, ttmp6, 0x40010
	s_bfe_u32 s8, ttmp6, 0x40004
	s_add_co_i32 s7, s4, 1
	s_clause 0x1
	s_load_b128 s[12:15], s[0:1], 0x60
	s_load_b64 s[4:5], s[0:1], 0x48
	s_mul_i32 s7, ttmp7, s7
	s_lshr_b32 s3, s3, 4
	v_dual_mov_b32 v5, 0 :: v_dual_bitop2_b32 v6, 7, v1 bitop3:0x40
	s_add_co_i32 s8, s8, s7
	s_cmp_eq_u32 s6, 0
	v_lshrrev_b32_e32 v0, 3, v0
	s_cselect_b32 s6, ttmp7, s8
	v_mov_b32_e32 v9, v5
	v_lshl_or_b32 v2, s6, 3, v6
	s_cmp_neq_f32 s24, 0
	v_dual_mov_b32 v7, v5 :: v_dual_lshrrev_b32 v8, 3, v1
	v_lshl_or_b32 v22, v0, 5, 0x300
	s_delay_alu instid0(VALU_DEP_3)
	v_ashrrev_i32_e32 v3, 31, v2
	v_mul_u32_u24_e32 v23, 0x60, v0
	v_mul_u32_u24_e32 v25, 12, v6
	v_lshlrev_b32_e32 v0, 2, v8
	s_wait_kmcnt 0x0
	v_mul_u64_e32 v[12:13], s[14:15], v[8:9]
	v_mul_u64_e32 v[10:11], s[14:15], v[2:3]
	;; [unrolled: 1-line block ×3, first 2 shown]
	s_load_b256 s[4:11], s[0:1], 0x28
	s_wait_xcnt 0x0
	s_cselect_b32 s1, -1, 0
	s_cmp_lg_u32 s16, 1
	v_bfe_u32 v9, v1, 3, 1
	s_cselect_b32 s16, -1, 0
	s_cmp_eq_u32 s20, 0
	v_dual_mov_b32 v1, v5 :: v_dual_mov_b32 v17, v5
	s_cselect_b32 s18, -1, 0
	v_lshl_add_u64 v[18:19], v[2:3], 2, s[12:13]
	v_cndmask_b32_e64 v16, 0, 1, s18
	s_mov_b32 s15, 0
	s_mov_b32 s14, s17
	v_add_nc_u32_e32 v25, v23, v25
	v_lshl_or_b32 v24, v6, 2, v22
	v_lshlrev_b32_e32 v16, v16, v9
	v_sub_nc_u64_e64 v[8:9], v[6:7], s[14:15]
	v_cmp_gt_i32_e64 s0, s22, v2
	s_delay_alu instid0(VALU_DEP_3) | instskip(SKIP_1) | instid1(VALU_DEP_1)
	v_lshlrev_b32_e32 v16, 2, v16
	s_wait_kmcnt 0x0
	v_add_nc_u64_e32 v[16:17], s[8:9], v[16:17]
	s_and_b32 s8, s18, exec_lo
	s_cselect_b32 s8, 4, 8
	s_mov_b32 s9, s15
	v_lshl_add_u64 v[20:21], v[10:11], 2, s[12:13]
	v_lshl_add_u64 v[10:11], v[12:13], 2, v[18:19]
	;; [unrolled: 1-line block ×3, first 2 shown]
	s_mov_b32 s10, s15
	s_delay_alu instid0(VALU_DEP_3)
	v_add_nc_u64_e32 v[14:15], v[20:21], v[0:1]
	s_branch .LBB1_8
.LBB1_7:                                ;   in Loop: Header=BB1_8 Depth=1
	s_wait_xcnt 0x0
	s_or_b32 exec_lo, exec_lo, s11
	v_add_nc_u32_e32 v4, s3, v4
	s_delay_alu instid0(VALU_DEP_1) | instskip(SKIP_1) | instid1(SALU_CYCLE_1)
	v_cmp_le_i32_e32 vcc_lo, s21, v4
	s_or_b32 s10, vcc_lo, s10
	s_and_not1_b32 exec_lo, exec_lo, s10
	s_cbranch_execz .LBB1_28
.LBB1_8:                                ; =>This Loop Header: Depth=1
                                        ;     Child Loop BB1_11 Depth 2
	v_lshl_add_u64 v[0:1], v[4:5], 3, s[4:5]
	v_mov_b32_e32 v26, 0
	s_mov_b32 s11, exec_lo
	global_load_b128 v[0:3], v[0:1], off
	s_wait_loadcnt 0x0
	s_wait_xcnt 0x0
	v_cmpx_lt_i64_e64 v[0:1], v[2:3]
	s_cbranch_execz .LBB1_16
; %bb.9:                                ;   in Loop: Header=BB1_8 Depth=1
	v_add_nc_u64_e32 v[20:21], v[8:9], v[0:1]
	v_sub_nc_u64_e64 v[2:3], v[2:3], s[14:15]
	v_sub_nc_u64_e64 v[0:1], v[0:1], s[14:15]
	v_mov_b32_e32 v26, 0
	s_mov_b32 s12, 0
	s_delay_alu instid0(VALU_DEP_4)
	v_lshl_add_u64 v[18:19], v[20:21], 2, s[6:7]
	v_lshl_add_u64 v[20:21], v[20:21], 4, v[16:17]
	s_branch .LBB1_11
.LBB1_10:                               ;   in Loop: Header=BB1_11 Depth=2
	s_or_b32 exec_lo, exec_lo, s13
	v_add_nc_u64_e32 v[0:1], 8, v[0:1]
	v_add_nc_u64_e32 v[18:19], 32, v[18:19]
	;; [unrolled: 1-line block ×3, first 2 shown]
	s_delay_alu instid0(VALU_DEP_3) | instskip(SKIP_1) | instid1(SALU_CYCLE_1)
	v_cmp_ge_i64_e32 vcc_lo, v[0:1], v[2:3]
	s_or_b32 s12, vcc_lo, s12
	s_and_not1_b32 exec_lo, exec_lo, s12
	s_cbranch_execz .LBB1_15
.LBB1_11:                               ;   Parent Loop BB1_8 Depth=1
                                        ; =>  This Inner Loop Header: Depth=2
	s_delay_alu instid0(VALU_DEP_4) | instskip(SKIP_1) | instid1(VALU_DEP_2)
	v_add_nc_u64_e32 v[28:29], v[6:7], v[0:1]
	v_mov_b32_e32 v27, 0
	v_cmp_lt_i64_e32 vcc_lo, v[28:29], v[2:3]
	v_dual_mov_b32 v29, 0 :: v_dual_mov_b32 v28, 0
	s_and_saveexec_b32 s13, vcc_lo
	s_cbranch_execz .LBB1_13
; %bb.12:                               ;   in Loop: Header=BB1_11 Depth=2
	global_load_b32 v29, v[18:19], off
	v_add_nc_u64_e32 v[30:31], s[8:9], v[20:21]
	s_clause 0x1
	global_load_b32 v27, v[20:21], off
	global_load_b32 v28, v[30:31], off
	s_wait_loadcnt 0x2
	v_subrev_nc_u32_e32 v29, s17, v29
	s_delay_alu instid0(VALU_DEP_1)
	v_lshlrev_b32_e32 v29, 1, v29
.LBB1_13:                               ;   in Loop: Header=BB1_11 Depth=2
	s_wait_xcnt 0x0
	s_or_b32 exec_lo, exec_lo, s13
	ds_store_b32 v24, v29
	s_wait_loadcnt 0x0
	ds_store_2addr_b32 v25, v27, v28 offset1:1
	s_wait_dscnt 0x0
	s_barrier_signal -1
	s_barrier_wait -1
	s_and_saveexec_b32 s13, s0
	s_cbranch_execz .LBB1_10
; %bb.14:                               ;   in Loop: Header=BB1_11 Depth=2
	ds_load_b128 v[28:31], v22
	ds_load_b128 v[32:35], v22 offset:16
	s_wait_dscnt 0x1
	v_dual_mov_b32 v36, v28 :: v_dual_ashrrev_i32 v37, 31, v28
	v_dual_mov_b32 v38, v29 :: v_dual_ashrrev_i32 v39, 31, v29
	s_delay_alu instid0(VALU_DEP_2) | instskip(NEXT) | instid1(VALU_DEP_2)
	v_lshl_add_u64 v[36:37], v[36:37], 2, v[12:13]
	v_lshl_add_u64 v[28:29], v[38:39], 2, v[12:13]
	v_dual_mov_b32 v38, v30 :: v_dual_ashrrev_i32 v39, 31, v30
	global_load_b64 v[36:37], v[36:37], off
	s_wait_dscnt 0x0
	v_mov_b32_e32 v30, v32
	global_load_b64 v[40:41], v[28:29], off
	s_wait_xcnt 0x0
	v_lshl_add_u64 v[28:29], v[38:39], 2, v[12:13]
	global_load_b64 v[38:39], v[28:29], off
	s_wait_xcnt 0x0
	v_dual_mov_b32 v28, v31 :: v_dual_ashrrev_i32 v29, 31, v31
	v_ashrrev_i32_e32 v31, 31, v32
	s_delay_alu instid0(VALU_DEP_2)
	v_lshl_add_u64 v[28:29], v[28:29], 2, v[12:13]
	global_load_b64 v[42:43], v[28:29], off
	s_wait_xcnt 0x0
	v_lshl_add_u64 v[28:29], v[30:31], 2, v[12:13]
	v_dual_mov_b32 v30, v34 :: v_dual_ashrrev_i32 v31, 31, v34
	global_load_b64 v[44:45], v[28:29], off
	s_wait_xcnt 0x0
	v_dual_mov_b32 v28, v33 :: v_dual_ashrrev_i32 v29, 31, v33
	s_delay_alu instid0(VALU_DEP_1)
	v_lshl_add_u64 v[28:29], v[28:29], 2, v[12:13]
	global_load_b64 v[46:47], v[28:29], off
	s_wait_xcnt 0x0
	v_lshl_add_u64 v[28:29], v[30:31], 2, v[12:13]
	global_load_b64 v[48:49], v[28:29], off
	s_wait_xcnt 0x0
	v_dual_mov_b32 v28, v35 :: v_dual_ashrrev_i32 v29, 31, v35
	s_delay_alu instid0(VALU_DEP_1)
	v_lshl_add_u64 v[28:29], v[28:29], 2, v[12:13]
	global_load_b64 v[50:51], v[28:29], off
	s_wait_xcnt 0x0
	ds_load_2addr_b64 v[28:31], v23 offset1:3
	ds_load_2addr_b32 v[32:33], v23 offset0:3 offset1:4
	s_wait_loadcnt_dscnt 0x701
	v_fmac_f32_e32 v26, v28, v36
	s_delay_alu instid0(VALU_DEP_1)
	v_fmac_f32_e32 v26, v29, v37
	ds_load_2addr_b32 v[28:29], v23 offset0:9 offset1:10
	ds_load_2addr_b32 v[36:37], v23 offset0:15 offset1:16
	;; [unrolled: 1-line block ×3, first 2 shown]
	s_wait_loadcnt_dscnt 0x603
	v_fmac_f32_e32 v26, v32, v40
	s_delay_alu instid0(VALU_DEP_1) | instskip(SKIP_3) | instid1(VALU_DEP_1)
	v_fmac_f32_e32 v26, v33, v41
	ds_load_2addr_b64 v[32:35], v23 offset0:6 offset1:9
	s_wait_loadcnt 0x5
	v_fmac_f32_e32 v26, v30, v38
	v_fmac_f32_e32 v26, v31, v39
	s_wait_loadcnt_dscnt 0x403
	s_delay_alu instid0(VALU_DEP_1) | instskip(NEXT) | instid1(VALU_DEP_1)
	v_fmac_f32_e32 v26, v28, v42
	v_fmac_f32_e32 v26, v29, v43
	s_wait_loadcnt_dscnt 0x300
	s_delay_alu instid0(VALU_DEP_1) | instskip(NEXT) | instid1(VALU_DEP_1)
	v_fmac_f32_e32 v26, v32, v44
	v_fmac_f32_e32 v26, v33, v45
	s_wait_loadcnt 0x2
	s_delay_alu instid0(VALU_DEP_1) | instskip(NEXT) | instid1(VALU_DEP_1)
	v_fmac_f32_e32 v26, v36, v46
	v_fmac_f32_e32 v26, v37, v47
	s_wait_loadcnt 0x1
	;; [unrolled: 4-line block ×3, first 2 shown]
	s_delay_alu instid0(VALU_DEP_1) | instskip(NEXT) | instid1(VALU_DEP_1)
	v_fmac_f32_e32 v26, v52, v50
	v_fmac_f32_e32 v26, v53, v51
	s_branch .LBB1_10
.LBB1_15:                               ;   in Loop: Header=BB1_8 Depth=1
	s_or_b32 exec_lo, exec_lo, s12
.LBB1_16:                               ;   in Loop: Header=BB1_8 Depth=1
	s_delay_alu instid0(SALU_CYCLE_1)
	s_or_b32 exec_lo, exec_lo, s11
	s_and_saveexec_b32 s11, s0
	s_cbranch_execz .LBB1_7
; %bb.17:                               ;   in Loop: Header=BB1_8 Depth=1
	v_mul_f32_e32 v0, s2, v26
	s_and_b32 vcc_lo, exec_lo, s1
	s_cbranch_vccz .LBB1_23
; %bb.18:                               ;   in Loop: Header=BB1_8 Depth=1
	s_and_b32 vcc_lo, exec_lo, s16
	s_mov_b32 s12, -1
	s_cbranch_vccz .LBB1_20
; %bb.19:                               ;   in Loop: Header=BB1_8 Depth=1
	global_load_b32 v1, v[10:11], off
	s_mov_b32 s12, 0
	s_wait_loadcnt 0x0
	v_fma_f32 v1, s24, v1, v0
	global_store_b32 v[10:11], v1, off
.LBB1_20:                               ;   in Loop: Header=BB1_8 Depth=1
	s_and_not1_b32 vcc_lo, exec_lo, s12
	s_cbranch_vccnz .LBB1_22
; %bb.21:                               ;   in Loop: Header=BB1_8 Depth=1
	global_load_b32 v1, v[14:15], off
	s_wait_loadcnt 0x0
	v_fma_f32 v1, s24, v1, v0
	global_store_b32 v[14:15], v1, off
.LBB1_22:                               ;   in Loop: Header=BB1_8 Depth=1
	s_cbranch_execnz .LBB1_7
	s_branch .LBB1_24
.LBB1_23:                               ;   in Loop: Header=BB1_8 Depth=1
.LBB1_24:                               ;   in Loop: Header=BB1_8 Depth=1
	s_and_b32 vcc_lo, exec_lo, s16
	s_mov_b32 s12, -1
	s_cbranch_vccz .LBB1_26
; %bb.25:                               ;   in Loop: Header=BB1_8 Depth=1
	s_mov_b32 s12, 0
	global_store_b32 v[10:11], v0, off
.LBB1_26:                               ;   in Loop: Header=BB1_8 Depth=1
	s_and_not1_b32 vcc_lo, exec_lo, s12
	s_cbranch_vccnz .LBB1_7
; %bb.27:                               ;   in Loop: Header=BB1_8 Depth=1
	global_store_b32 v[14:15], v0, off
	s_branch .LBB1_7
.LBB1_28:
	s_endpgm
	.section	.rodata,"a",@progbits
	.p2align	6, 0x0
	.amdhsa_kernel _ZN9rocsparseL29bsrmmnn_small_blockdim_kernelILj64ELj8ELj2EliffffEEv20rocsparse_direction_T3_S2_llNS_24const_host_device_scalarIT7_EEPKT2_PKS2_PKT4_PKT5_llS5_PT6_ll16rocsparse_order_21rocsparse_index_base_b
		.amdhsa_group_segment_fixed_size 1024
		.amdhsa_private_segment_fixed_size 0
		.amdhsa_kernarg_size 392
		.amdhsa_user_sgpr_count 2
		.amdhsa_user_sgpr_dispatch_ptr 0
		.amdhsa_user_sgpr_queue_ptr 0
		.amdhsa_user_sgpr_kernarg_segment_ptr 1
		.amdhsa_user_sgpr_dispatch_id 0
		.amdhsa_user_sgpr_kernarg_preload_length 0
		.amdhsa_user_sgpr_kernarg_preload_offset 0
		.amdhsa_user_sgpr_private_segment_size 0
		.amdhsa_wavefront_size32 1
		.amdhsa_uses_dynamic_stack 0
		.amdhsa_enable_private_segment 0
		.amdhsa_system_sgpr_workgroup_id_x 1
		.amdhsa_system_sgpr_workgroup_id_y 1
		.amdhsa_system_sgpr_workgroup_id_z 0
		.amdhsa_system_sgpr_workgroup_info 0
		.amdhsa_system_vgpr_workitem_id 0
		.amdhsa_next_free_vgpr 54
		.amdhsa_next_free_sgpr 26
		.amdhsa_named_barrier_count 0
		.amdhsa_reserve_vcc 1
		.amdhsa_float_round_mode_32 0
		.amdhsa_float_round_mode_16_64 0
		.amdhsa_float_denorm_mode_32 3
		.amdhsa_float_denorm_mode_16_64 3
		.amdhsa_fp16_overflow 0
		.amdhsa_memory_ordered 1
		.amdhsa_forward_progress 1
		.amdhsa_inst_pref_size 13
		.amdhsa_round_robin_scheduling 0
		.amdhsa_exception_fp_ieee_invalid_op 0
		.amdhsa_exception_fp_denorm_src 0
		.amdhsa_exception_fp_ieee_div_zero 0
		.amdhsa_exception_fp_ieee_overflow 0
		.amdhsa_exception_fp_ieee_underflow 0
		.amdhsa_exception_fp_ieee_inexact 0
		.amdhsa_exception_int_div_zero 0
	.end_amdhsa_kernel
	.section	.text._ZN9rocsparseL29bsrmmnn_small_blockdim_kernelILj64ELj8ELj2EliffffEEv20rocsparse_direction_T3_S2_llNS_24const_host_device_scalarIT7_EEPKT2_PKS2_PKT4_PKT5_llS5_PT6_ll16rocsparse_order_21rocsparse_index_base_b,"axG",@progbits,_ZN9rocsparseL29bsrmmnn_small_blockdim_kernelILj64ELj8ELj2EliffffEEv20rocsparse_direction_T3_S2_llNS_24const_host_device_scalarIT7_EEPKT2_PKS2_PKT4_PKT5_llS5_PT6_ll16rocsparse_order_21rocsparse_index_base_b,comdat
.Lfunc_end1:
	.size	_ZN9rocsparseL29bsrmmnn_small_blockdim_kernelILj64ELj8ELj2EliffffEEv20rocsparse_direction_T3_S2_llNS_24const_host_device_scalarIT7_EEPKT2_PKS2_PKT4_PKT5_llS5_PT6_ll16rocsparse_order_21rocsparse_index_base_b, .Lfunc_end1-_ZN9rocsparseL29bsrmmnn_small_blockdim_kernelILj64ELj8ELj2EliffffEEv20rocsparse_direction_T3_S2_llNS_24const_host_device_scalarIT7_EEPKT2_PKS2_PKT4_PKT5_llS5_PT6_ll16rocsparse_order_21rocsparse_index_base_b
                                        ; -- End function
	.set _ZN9rocsparseL29bsrmmnn_small_blockdim_kernelILj64ELj8ELj2EliffffEEv20rocsparse_direction_T3_S2_llNS_24const_host_device_scalarIT7_EEPKT2_PKS2_PKT4_PKT5_llS5_PT6_ll16rocsparse_order_21rocsparse_index_base_b.num_vgpr, 54
	.set _ZN9rocsparseL29bsrmmnn_small_blockdim_kernelILj64ELj8ELj2EliffffEEv20rocsparse_direction_T3_S2_llNS_24const_host_device_scalarIT7_EEPKT2_PKS2_PKT4_PKT5_llS5_PT6_ll16rocsparse_order_21rocsparse_index_base_b.num_agpr, 0
	.set _ZN9rocsparseL29bsrmmnn_small_blockdim_kernelILj64ELj8ELj2EliffffEEv20rocsparse_direction_T3_S2_llNS_24const_host_device_scalarIT7_EEPKT2_PKS2_PKT4_PKT5_llS5_PT6_ll16rocsparse_order_21rocsparse_index_base_b.numbered_sgpr, 26
	.set _ZN9rocsparseL29bsrmmnn_small_blockdim_kernelILj64ELj8ELj2EliffffEEv20rocsparse_direction_T3_S2_llNS_24const_host_device_scalarIT7_EEPKT2_PKS2_PKT4_PKT5_llS5_PT6_ll16rocsparse_order_21rocsparse_index_base_b.num_named_barrier, 0
	.set _ZN9rocsparseL29bsrmmnn_small_blockdim_kernelILj64ELj8ELj2EliffffEEv20rocsparse_direction_T3_S2_llNS_24const_host_device_scalarIT7_EEPKT2_PKS2_PKT4_PKT5_llS5_PT6_ll16rocsparse_order_21rocsparse_index_base_b.private_seg_size, 0
	.set _ZN9rocsparseL29bsrmmnn_small_blockdim_kernelILj64ELj8ELj2EliffffEEv20rocsparse_direction_T3_S2_llNS_24const_host_device_scalarIT7_EEPKT2_PKS2_PKT4_PKT5_llS5_PT6_ll16rocsparse_order_21rocsparse_index_base_b.uses_vcc, 1
	.set _ZN9rocsparseL29bsrmmnn_small_blockdim_kernelILj64ELj8ELj2EliffffEEv20rocsparse_direction_T3_S2_llNS_24const_host_device_scalarIT7_EEPKT2_PKS2_PKT4_PKT5_llS5_PT6_ll16rocsparse_order_21rocsparse_index_base_b.uses_flat_scratch, 0
	.set _ZN9rocsparseL29bsrmmnn_small_blockdim_kernelILj64ELj8ELj2EliffffEEv20rocsparse_direction_T3_S2_llNS_24const_host_device_scalarIT7_EEPKT2_PKS2_PKT4_PKT5_llS5_PT6_ll16rocsparse_order_21rocsparse_index_base_b.has_dyn_sized_stack, 0
	.set _ZN9rocsparseL29bsrmmnn_small_blockdim_kernelILj64ELj8ELj2EliffffEEv20rocsparse_direction_T3_S2_llNS_24const_host_device_scalarIT7_EEPKT2_PKS2_PKT4_PKT5_llS5_PT6_ll16rocsparse_order_21rocsparse_index_base_b.has_recursion, 0
	.set _ZN9rocsparseL29bsrmmnn_small_blockdim_kernelILj64ELj8ELj2EliffffEEv20rocsparse_direction_T3_S2_llNS_24const_host_device_scalarIT7_EEPKT2_PKS2_PKT4_PKT5_llS5_PT6_ll16rocsparse_order_21rocsparse_index_base_b.has_indirect_call, 0
	.section	.AMDGPU.csdata,"",@progbits
; Kernel info:
; codeLenInByte = 1548
; TotalNumSgprs: 28
; NumVgprs: 54
; ScratchSize: 0
; MemoryBound: 0
; FloatMode: 240
; IeeeMode: 1
; LDSByteSize: 1024 bytes/workgroup (compile time only)
; SGPRBlocks: 0
; VGPRBlocks: 3
; NumSGPRsForWavesPerEU: 28
; NumVGPRsForWavesPerEU: 54
; NamedBarCnt: 0
; Occupancy: 16
; WaveLimiterHint : 0
; COMPUTE_PGM_RSRC2:SCRATCH_EN: 0
; COMPUTE_PGM_RSRC2:USER_SGPR: 2
; COMPUTE_PGM_RSRC2:TRAP_HANDLER: 0
; COMPUTE_PGM_RSRC2:TGID_X_EN: 1
; COMPUTE_PGM_RSRC2:TGID_Y_EN: 1
; COMPUTE_PGM_RSRC2:TGID_Z_EN: 0
; COMPUTE_PGM_RSRC2:TIDIG_COMP_CNT: 0
	.section	.text._ZN9rocsparseL29bsrmmnn_small_blockdim_kernelILj64ELj8ELj2EllffffEEv20rocsparse_direction_T3_S2_llNS_24const_host_device_scalarIT7_EEPKT2_PKS2_PKT4_PKT5_llS5_PT6_ll16rocsparse_order_21rocsparse_index_base_b,"axG",@progbits,_ZN9rocsparseL29bsrmmnn_small_blockdim_kernelILj64ELj8ELj2EllffffEEv20rocsparse_direction_T3_S2_llNS_24const_host_device_scalarIT7_EEPKT2_PKS2_PKT4_PKT5_llS5_PT6_ll16rocsparse_order_21rocsparse_index_base_b,comdat
	.globl	_ZN9rocsparseL29bsrmmnn_small_blockdim_kernelILj64ELj8ELj2EllffffEEv20rocsparse_direction_T3_S2_llNS_24const_host_device_scalarIT7_EEPKT2_PKS2_PKT4_PKT5_llS5_PT6_ll16rocsparse_order_21rocsparse_index_base_b ; -- Begin function _ZN9rocsparseL29bsrmmnn_small_blockdim_kernelILj64ELj8ELj2EllffffEEv20rocsparse_direction_T3_S2_llNS_24const_host_device_scalarIT7_EEPKT2_PKS2_PKT4_PKT5_llS5_PT6_ll16rocsparse_order_21rocsparse_index_base_b
	.p2align	8
	.type	_ZN9rocsparseL29bsrmmnn_small_blockdim_kernelILj64ELj8ELj2EllffffEEv20rocsparse_direction_T3_S2_llNS_24const_host_device_scalarIT7_EEPKT2_PKS2_PKT4_PKT5_llS5_PT6_ll16rocsparse_order_21rocsparse_index_base_b,@function
_ZN9rocsparseL29bsrmmnn_small_blockdim_kernelILj64ELj8ELj2EllffffEEv20rocsparse_direction_T3_S2_llNS_24const_host_device_scalarIT7_EEPKT2_PKS2_PKT4_PKT5_llS5_PT6_ll16rocsparse_order_21rocsparse_index_base_b: ; @_ZN9rocsparseL29bsrmmnn_small_blockdim_kernelILj64ELj8ELj2EllffffEEv20rocsparse_direction_T3_S2_llNS_24const_host_device_scalarIT7_EEPKT2_PKS2_PKT4_PKT5_llS5_PT6_ll16rocsparse_order_21rocsparse_index_base_b
; %bb.0:
	s_clause 0x2
	s_load_b96 s[20:22], s[0:1], 0x80
	s_load_b64 s[2:3], s[0:1], 0x28
	s_load_b64 s[24:25], s[0:1], 0x60
	s_wait_kmcnt 0x0
	s_bitcmp1_b32 s22, 0
	s_cselect_b32 s4, -1, 0
	s_delay_alu instid0(SALU_CYCLE_1)
	s_and_b32 vcc_lo, exec_lo, s4
	s_xor_b32 s4, s4, -1
	s_cbranch_vccnz .LBB2_2
; %bb.1:
	s_load_b32 s2, s[2:3], 0x0
.LBB2_2:
	s_and_not1_b32 vcc_lo, exec_lo, s4
	s_cbranch_vccnz .LBB2_4
; %bb.3:
	s_load_b32 s24, s[24:25], 0x0
.LBB2_4:
	s_wait_kmcnt 0x0
	s_cmp_eq_f32 s2, 0
	s_mov_b32 s5, 0
	s_cselect_b32 s3, -1, 0
	s_cmp_eq_f32 s24, 1.0
	s_cselect_b32 s4, -1, 0
	s_delay_alu instid0(SALU_CYCLE_1) | instskip(NEXT) | instid1(SALU_CYCLE_1)
	s_and_b32 s3, s3, s4
	s_and_b32 vcc_lo, exec_lo, s3
	s_cbranch_vccnz .LBB2_28
; %bb.5:
	s_load_b32 s3, s[0:1], 0x90
	s_bfe_u32 s4, ttmp6, 0x4000c
	s_and_b32 s6, ttmp6, 15
	s_add_co_i32 s4, s4, 1
	s_getreg_b32 s23, hwreg(HW_REG_IB_STS2, 6, 4)
	s_mul_i32 s4, ttmp9, s4
	s_delay_alu instid0(SALU_CYCLE_1)
	s_add_co_i32 s6, s6, s4
	s_cmp_eq_u32 s23, 0
	s_cselect_b32 s8, ttmp9, s6
	s_add_nc_u64 s[6:7], s[0:1], 0x90
	s_wait_kmcnt 0x0
	s_cmp_lt_u32 s8, s3
	s_cselect_b32 s4, 12, 18
	s_delay_alu instid0(SALU_CYCLE_1)
	s_add_nc_u64 s[4:5], s[6:7], s[4:5]
	s_load_u16 s22, s[4:5], 0x0
	s_load_b128 s[12:15], s[0:1], 0x8
	s_wait_xcnt 0x0
	s_mov_b32 s4, exec_lo
	s_wait_kmcnt 0x0
	v_mad_u32 v1, s8, s22, v0
	s_delay_alu instid0(VALU_DEP_1) | instskip(NEXT) | instid1(VALU_DEP_1)
	v_dual_mov_b32 v5, 0 :: v_dual_lshrrev_b32 v4, 4, v1
	v_cmpx_gt_i64_e64 s[12:13], v[4:5]
	s_cbranch_execz .LBB2_28
; %bb.6:
	s_clause 0x2
	s_load_b256 s[4:11], s[0:1], 0x30
	s_load_b128 s[16:19], s[0:1], 0x68
	s_load_b64 s[26:27], s[0:1], 0x50
	s_bfe_u32 s25, ttmp6, 0x40010
	s_mul_i32 s3, s3, s22
	s_add_co_i32 s25, s25, 1
	s_bfe_u32 s28, ttmp6, 0x40004
	s_mul_i32 s25, ttmp7, s25
	v_mov_b64_e32 v[6:7], v[4:5]
	s_lshr_b32 s22, s3, 4
	s_add_co_i32 s28, s28, s25
	v_dual_mov_b32 v3, v5 :: v_dual_bitop2_b32 v4, 7, v1 bitop3:0x40
	s_cmp_eq_u32 s23, 0
	v_dual_mov_b32 v9, v5 :: v_dual_lshrrev_b32 v8, 3, v1
	s_cselect_b32 s3, ttmp7, s28
	s_load_b32 s25, s[0:1], 0x0
	v_lshl_or_b32 v2, s3, 3, v4
	s_delay_alu instid0(VALU_DEP_2)
	v_dual_mov_b32 v1, v5 :: v_dual_lshlrev_b32 v10, 2, v8
	s_wait_kmcnt 0x0
	v_mul_u64_e32 v[12:13], s[18:19], v[8:9]
	v_lshrrev_b32_e32 v8, 3, v0
	v_mul_u64_e32 v[14:15], s[18:19], v[2:3]
	v_mul_u64_e32 v[16:17], s[26:27], v[2:3]
	v_and_b32_e32 v0, 4, v10
	s_cmp_neq_f32 s24, 0
	s_mov_b32 s23, 0
	v_lshl_add_u32 v24, v8, 6, 0x300
	v_mul_u32_u24_e32 v25, 0x60, v8
	v_add_nc_u64_e32 v[18:19], s[8:9], v[0:1]
	s_cselect_b32 s1, -1, 0
	s_cmp_lg_u32 s20, 1
	v_mul_u32_u24_e32 v22, 12, v4
	s_cselect_b32 s3, -1, 0
	v_cmp_gt_i64_e64 s0, s[14:15], v[2:3]
	v_lshl_add_u64 v[2:3], v[2:3], 2, s[16:17]
	s_cmp_eq_u32 s25, 0
	v_add_nc_u64_e32 v[0:1], v[18:19], v[0:1]
	s_cselect_b32 vcc_lo, -1, 0
	v_mov_b32_e32 v11, v5
	s_mov_b32 s18, s21
	s_mov_b32 s19, s23
	v_lshl_or_b32 v26, v4, 3, v24
	v_sub_nc_u64_e64 v[8:9], v[4:5], s[18:19]
	v_add_nc_u64_e32 v[20:21], s[16:17], v[10:11]
	v_dual_cndmask_b32 v11, v19, v1, vcc_lo :: v_dual_add_nc_u32 v27, v25, v22
	v_cndmask_b32_e32 v10, v18, v0, vcc_lo
	s_and_b32 s8, vcc_lo, exec_lo
	s_cselect_b32 s8, 4, 8
	s_mov_b32 s9, s23
	v_lshl_add_u64 v[12:13], v[12:13], 2, v[2:3]
	v_lshl_add_u64 v[14:15], v[14:15], 2, v[20:21]
	;; [unrolled: 1-line block ×3, first 2 shown]
	s_mov_b32 s10, s23
	s_branch .LBB2_8
.LBB2_7:                                ;   in Loop: Header=BB2_8 Depth=1
	s_wait_xcnt 0x0
	s_or_b32 exec_lo, exec_lo, s11
	v_add_nc_u64_e32 v[6:7], s[22:23], v[6:7]
	s_delay_alu instid0(VALU_DEP_1) | instskip(SKIP_1) | instid1(SALU_CYCLE_1)
	v_cmp_le_i64_e32 vcc_lo, s[12:13], v[6:7]
	s_or_b32 s10, vcc_lo, s10
	s_and_not1_b32 exec_lo, exec_lo, s10
	s_cbranch_execz .LBB2_28
.LBB2_8:                                ; =>This Loop Header: Depth=1
                                        ;     Child Loop BB2_11 Depth 2
	v_lshl_add_u64 v[0:1], v[6:7], 3, s[4:5]
	v_mov_b32_e32 v28, 0
	s_mov_b32 s11, exec_lo
	global_load_b128 v[0:3], v[0:1], off
	s_wait_loadcnt 0x0
	s_wait_xcnt 0x0
	v_cmpx_lt_i64_e64 v[0:1], v[2:3]
	s_cbranch_execz .LBB2_16
; %bb.9:                                ;   in Loop: Header=BB2_8 Depth=1
	v_add_nc_u64_e32 v[20:21], v[8:9], v[0:1]
	v_sub_nc_u64_e64 v[2:3], v[2:3], s[18:19]
	v_sub_nc_u64_e64 v[0:1], v[0:1], s[18:19]
	v_mov_b32_e32 v28, 0
	s_mov_b32 s14, 0
	s_delay_alu instid0(VALU_DEP_4)
	v_lshl_add_u64 v[18:19], v[20:21], 3, s[6:7]
	v_lshl_add_u64 v[20:21], v[20:21], 4, v[10:11]
	s_branch .LBB2_11
.LBB2_10:                               ;   in Loop: Header=BB2_11 Depth=2
	s_or_b32 exec_lo, exec_lo, s15
	v_add_nc_u64_e32 v[0:1], 8, v[0:1]
	v_add_nc_u64_e32 v[18:19], 64, v[18:19]
	;; [unrolled: 1-line block ×3, first 2 shown]
	s_delay_alu instid0(VALU_DEP_3) | instskip(SKIP_1) | instid1(SALU_CYCLE_1)
	v_cmp_ge_i64_e32 vcc_lo, v[0:1], v[2:3]
	s_or_b32 s14, vcc_lo, s14
	s_and_not1_b32 exec_lo, exec_lo, s14
	s_cbranch_execz .LBB2_15
.LBB2_11:                               ;   Parent Loop BB2_8 Depth=1
                                        ; =>  This Inner Loop Header: Depth=2
	s_delay_alu instid0(VALU_DEP_4) | instskip(SKIP_1) | instid1(VALU_DEP_2)
	v_add_nc_u64_e32 v[22:23], v[4:5], v[0:1]
	v_dual_mov_b32 v29, 0 :: v_dual_mov_b32 v30, 0
	v_cmp_lt_i64_e32 vcc_lo, v[22:23], v[2:3]
	v_mov_b64_e32 v[22:23], 0
	s_and_saveexec_b32 s15, vcc_lo
	s_cbranch_execz .LBB2_13
; %bb.12:                               ;   in Loop: Header=BB2_11 Depth=2
	global_load_b64 v[22:23], v[18:19], off
	v_add_nc_u64_e32 v[32:33], s[8:9], v[20:21]
	s_clause 0x1
	global_load_b32 v29, v[20:21], off
	global_load_b32 v30, v[32:33], off
	s_wait_loadcnt 0x2
	v_sub_nc_u64_e64 v[22:23], v[22:23], s[18:19]
	s_delay_alu instid0(VALU_DEP_1)
	v_lshlrev_b64_e32 v[22:23], 1, v[22:23]
.LBB2_13:                               ;   in Loop: Header=BB2_11 Depth=2
	s_wait_xcnt 0x0
	s_or_b32 exec_lo, exec_lo, s15
	ds_store_b64 v26, v[22:23]
	s_wait_loadcnt 0x0
	ds_store_2addr_b32 v27, v29, v30 offset1:1
	s_wait_dscnt 0x0
	s_barrier_signal -1
	s_barrier_wait -1
	s_and_saveexec_b32 s15, s0
	s_cbranch_execz .LBB2_10
; %bb.14:                               ;   in Loop: Header=BB2_11 Depth=2
	ds_load_b128 v[30:33], v24
	ds_load_b128 v[34:37], v24 offset:16
	s_wait_dscnt 0x1
	v_lshl_add_u64 v[22:23], v[30:31], 2, v[16:17]
	v_lshl_add_u64 v[30:31], v[32:33], 2, v[16:17]
	s_wait_dscnt 0x0
	v_lshl_add_u64 v[34:35], v[34:35], 2, v[16:17]
	s_clause 0x2
	global_load_b64 v[22:23], v[22:23], off
	global_load_b64 v[38:39], v[30:31], off
	;; [unrolled: 1-line block ×3, first 2 shown]
	s_wait_xcnt 0x1
	ds_load_b128 v[30:33], v24 offset:32
	s_wait_xcnt 0x0
	v_lshl_add_u64 v[34:35], v[36:37], 2, v[16:17]
	global_load_b64 v[42:43], v[34:35], off
	s_wait_xcnt 0x0
	ds_load_b128 v[34:37], v24 offset:48
	s_wait_dscnt 0x1
	v_lshl_add_u64 v[30:31], v[30:31], 2, v[16:17]
	global_load_b64 v[44:45], v[30:31], off
	s_wait_xcnt 0x0
	v_lshl_add_u64 v[30:31], v[32:33], 2, v[16:17]
	global_load_b64 v[46:47], v[30:31], off
	s_wait_dscnt 0x0
	s_wait_xcnt 0x0
	v_lshl_add_u64 v[30:31], v[34:35], 2, v[16:17]
	global_load_b64 v[48:49], v[30:31], off
	s_wait_xcnt 0x0
	v_lshl_add_u64 v[30:31], v[36:37], 2, v[16:17]
	global_load_b64 v[50:51], v[30:31], off
	s_wait_xcnt 0x0
	ds_load_2addr_b64 v[30:33], v25 offset1:3
	ds_load_2addr_b32 v[34:35], v25 offset0:3 offset1:4
	s_wait_loadcnt_dscnt 0x701
	v_fmac_f32_e32 v28, v30, v22
	s_delay_alu instid0(VALU_DEP_1)
	v_fmac_f32_e32 v28, v31, v23
	ds_load_2addr_b32 v[22:23], v25 offset0:9 offset1:10
	ds_load_2addr_b32 v[30:31], v25 offset0:15 offset1:16
	;; [unrolled: 1-line block ×3, first 2 shown]
	s_wait_loadcnt_dscnt 0x603
	v_fmac_f32_e32 v28, v34, v38
	s_delay_alu instid0(VALU_DEP_1) | instskip(SKIP_3) | instid1(VALU_DEP_1)
	v_fmac_f32_e32 v28, v35, v39
	ds_load_2addr_b64 v[34:37], v25 offset0:6 offset1:9
	s_wait_loadcnt 0x5
	v_fmac_f32_e32 v28, v32, v40
	v_fmac_f32_e32 v28, v33, v41
	s_wait_loadcnt_dscnt 0x403
	s_delay_alu instid0(VALU_DEP_1) | instskip(NEXT) | instid1(VALU_DEP_1)
	v_fmac_f32_e32 v28, v22, v42
	v_fmac_f32_e32 v28, v23, v43
	s_wait_loadcnt_dscnt 0x300
	s_delay_alu instid0(VALU_DEP_1) | instskip(NEXT) | instid1(VALU_DEP_1)
	v_fmac_f32_e32 v28, v34, v44
	v_fmac_f32_e32 v28, v35, v45
	s_wait_loadcnt 0x2
	s_delay_alu instid0(VALU_DEP_1) | instskip(NEXT) | instid1(VALU_DEP_1)
	v_fmac_f32_e32 v28, v30, v46
	v_fmac_f32_e32 v28, v31, v47
	s_wait_loadcnt 0x1
	;; [unrolled: 4-line block ×3, first 2 shown]
	s_delay_alu instid0(VALU_DEP_1) | instskip(NEXT) | instid1(VALU_DEP_1)
	v_fmac_f32_e32 v28, v52, v50
	v_fmac_f32_e32 v28, v53, v51
	s_branch .LBB2_10
.LBB2_15:                               ;   in Loop: Header=BB2_8 Depth=1
	s_or_b32 exec_lo, exec_lo, s14
.LBB2_16:                               ;   in Loop: Header=BB2_8 Depth=1
	s_delay_alu instid0(SALU_CYCLE_1)
	s_or_b32 exec_lo, exec_lo, s11
	s_and_saveexec_b32 s11, s0
	s_cbranch_execz .LBB2_7
; %bb.17:                               ;   in Loop: Header=BB2_8 Depth=1
	v_mul_f32_e32 v0, s2, v28
	s_and_b32 vcc_lo, exec_lo, s1
	s_cbranch_vccz .LBB2_23
; %bb.18:                               ;   in Loop: Header=BB2_8 Depth=1
	s_and_b32 vcc_lo, exec_lo, s3
	s_mov_b32 s14, -1
	s_cbranch_vccz .LBB2_20
; %bb.19:                               ;   in Loop: Header=BB2_8 Depth=1
	global_load_b32 v1, v[12:13], off
	s_mov_b32 s14, 0
	s_wait_loadcnt 0x0
	v_fma_f32 v1, s24, v1, v0
	global_store_b32 v[12:13], v1, off
.LBB2_20:                               ;   in Loop: Header=BB2_8 Depth=1
	s_and_not1_b32 vcc_lo, exec_lo, s14
	s_cbranch_vccnz .LBB2_22
; %bb.21:                               ;   in Loop: Header=BB2_8 Depth=1
	global_load_b32 v1, v[14:15], off
	s_wait_loadcnt 0x0
	v_fma_f32 v1, s24, v1, v0
	global_store_b32 v[14:15], v1, off
.LBB2_22:                               ;   in Loop: Header=BB2_8 Depth=1
	s_cbranch_execnz .LBB2_7
	s_branch .LBB2_24
.LBB2_23:                               ;   in Loop: Header=BB2_8 Depth=1
.LBB2_24:                               ;   in Loop: Header=BB2_8 Depth=1
	s_and_b32 vcc_lo, exec_lo, s3
	s_mov_b32 s14, -1
	s_cbranch_vccz .LBB2_26
; %bb.25:                               ;   in Loop: Header=BB2_8 Depth=1
	s_mov_b32 s14, 0
	global_store_b32 v[12:13], v0, off
.LBB2_26:                               ;   in Loop: Header=BB2_8 Depth=1
	s_and_not1_b32 vcc_lo, exec_lo, s14
	s_cbranch_vccnz .LBB2_7
; %bb.27:                               ;   in Loop: Header=BB2_8 Depth=1
	global_store_b32 v[14:15], v0, off
	s_branch .LBB2_7
.LBB2_28:
	s_endpgm
	.section	.rodata,"a",@progbits
	.p2align	6, 0x0
	.amdhsa_kernel _ZN9rocsparseL29bsrmmnn_small_blockdim_kernelILj64ELj8ELj2EllffffEEv20rocsparse_direction_T3_S2_llNS_24const_host_device_scalarIT7_EEPKT2_PKS2_PKT4_PKT5_llS5_PT6_ll16rocsparse_order_21rocsparse_index_base_b
		.amdhsa_group_segment_fixed_size 1280
		.amdhsa_private_segment_fixed_size 0
		.amdhsa_kernarg_size 400
		.amdhsa_user_sgpr_count 2
		.amdhsa_user_sgpr_dispatch_ptr 0
		.amdhsa_user_sgpr_queue_ptr 0
		.amdhsa_user_sgpr_kernarg_segment_ptr 1
		.amdhsa_user_sgpr_dispatch_id 0
		.amdhsa_user_sgpr_kernarg_preload_length 0
		.amdhsa_user_sgpr_kernarg_preload_offset 0
		.amdhsa_user_sgpr_private_segment_size 0
		.amdhsa_wavefront_size32 1
		.amdhsa_uses_dynamic_stack 0
		.amdhsa_enable_private_segment 0
		.amdhsa_system_sgpr_workgroup_id_x 1
		.amdhsa_system_sgpr_workgroup_id_y 1
		.amdhsa_system_sgpr_workgroup_id_z 0
		.amdhsa_system_sgpr_workgroup_info 0
		.amdhsa_system_vgpr_workitem_id 0
		.amdhsa_next_free_vgpr 54
		.amdhsa_next_free_sgpr 29
		.amdhsa_named_barrier_count 0
		.amdhsa_reserve_vcc 1
		.amdhsa_float_round_mode_32 0
		.amdhsa_float_round_mode_16_64 0
		.amdhsa_float_denorm_mode_32 3
		.amdhsa_float_denorm_mode_16_64 3
		.amdhsa_fp16_overflow 0
		.amdhsa_memory_ordered 1
		.amdhsa_forward_progress 1
		.amdhsa_inst_pref_size 12
		.amdhsa_round_robin_scheduling 0
		.amdhsa_exception_fp_ieee_invalid_op 0
		.amdhsa_exception_fp_denorm_src 0
		.amdhsa_exception_fp_ieee_div_zero 0
		.amdhsa_exception_fp_ieee_overflow 0
		.amdhsa_exception_fp_ieee_underflow 0
		.amdhsa_exception_fp_ieee_inexact 0
		.amdhsa_exception_int_div_zero 0
	.end_amdhsa_kernel
	.section	.text._ZN9rocsparseL29bsrmmnn_small_blockdim_kernelILj64ELj8ELj2EllffffEEv20rocsparse_direction_T3_S2_llNS_24const_host_device_scalarIT7_EEPKT2_PKS2_PKT4_PKT5_llS5_PT6_ll16rocsparse_order_21rocsparse_index_base_b,"axG",@progbits,_ZN9rocsparseL29bsrmmnn_small_blockdim_kernelILj64ELj8ELj2EllffffEEv20rocsparse_direction_T3_S2_llNS_24const_host_device_scalarIT7_EEPKT2_PKS2_PKT4_PKT5_llS5_PT6_ll16rocsparse_order_21rocsparse_index_base_b,comdat
.Lfunc_end2:
	.size	_ZN9rocsparseL29bsrmmnn_small_blockdim_kernelILj64ELj8ELj2EllffffEEv20rocsparse_direction_T3_S2_llNS_24const_host_device_scalarIT7_EEPKT2_PKS2_PKT4_PKT5_llS5_PT6_ll16rocsparse_order_21rocsparse_index_base_b, .Lfunc_end2-_ZN9rocsparseL29bsrmmnn_small_blockdim_kernelILj64ELj8ELj2EllffffEEv20rocsparse_direction_T3_S2_llNS_24const_host_device_scalarIT7_EEPKT2_PKS2_PKT4_PKT5_llS5_PT6_ll16rocsparse_order_21rocsparse_index_base_b
                                        ; -- End function
	.set _ZN9rocsparseL29bsrmmnn_small_blockdim_kernelILj64ELj8ELj2EllffffEEv20rocsparse_direction_T3_S2_llNS_24const_host_device_scalarIT7_EEPKT2_PKS2_PKT4_PKT5_llS5_PT6_ll16rocsparse_order_21rocsparse_index_base_b.num_vgpr, 54
	.set _ZN9rocsparseL29bsrmmnn_small_blockdim_kernelILj64ELj8ELj2EllffffEEv20rocsparse_direction_T3_S2_llNS_24const_host_device_scalarIT7_EEPKT2_PKS2_PKT4_PKT5_llS5_PT6_ll16rocsparse_order_21rocsparse_index_base_b.num_agpr, 0
	.set _ZN9rocsparseL29bsrmmnn_small_blockdim_kernelILj64ELj8ELj2EllffffEEv20rocsparse_direction_T3_S2_llNS_24const_host_device_scalarIT7_EEPKT2_PKS2_PKT4_PKT5_llS5_PT6_ll16rocsparse_order_21rocsparse_index_base_b.numbered_sgpr, 29
	.set _ZN9rocsparseL29bsrmmnn_small_blockdim_kernelILj64ELj8ELj2EllffffEEv20rocsparse_direction_T3_S2_llNS_24const_host_device_scalarIT7_EEPKT2_PKS2_PKT4_PKT5_llS5_PT6_ll16rocsparse_order_21rocsparse_index_base_b.num_named_barrier, 0
	.set _ZN9rocsparseL29bsrmmnn_small_blockdim_kernelILj64ELj8ELj2EllffffEEv20rocsparse_direction_T3_S2_llNS_24const_host_device_scalarIT7_EEPKT2_PKS2_PKT4_PKT5_llS5_PT6_ll16rocsparse_order_21rocsparse_index_base_b.private_seg_size, 0
	.set _ZN9rocsparseL29bsrmmnn_small_blockdim_kernelILj64ELj8ELj2EllffffEEv20rocsparse_direction_T3_S2_llNS_24const_host_device_scalarIT7_EEPKT2_PKS2_PKT4_PKT5_llS5_PT6_ll16rocsparse_order_21rocsparse_index_base_b.uses_vcc, 1
	.set _ZN9rocsparseL29bsrmmnn_small_blockdim_kernelILj64ELj8ELj2EllffffEEv20rocsparse_direction_T3_S2_llNS_24const_host_device_scalarIT7_EEPKT2_PKS2_PKT4_PKT5_llS5_PT6_ll16rocsparse_order_21rocsparse_index_base_b.uses_flat_scratch, 0
	.set _ZN9rocsparseL29bsrmmnn_small_blockdim_kernelILj64ELj8ELj2EllffffEEv20rocsparse_direction_T3_S2_llNS_24const_host_device_scalarIT7_EEPKT2_PKS2_PKT4_PKT5_llS5_PT6_ll16rocsparse_order_21rocsparse_index_base_b.has_dyn_sized_stack, 0
	.set _ZN9rocsparseL29bsrmmnn_small_blockdim_kernelILj64ELj8ELj2EllffffEEv20rocsparse_direction_T3_S2_llNS_24const_host_device_scalarIT7_EEPKT2_PKS2_PKT4_PKT5_llS5_PT6_ll16rocsparse_order_21rocsparse_index_base_b.has_recursion, 0
	.set _ZN9rocsparseL29bsrmmnn_small_blockdim_kernelILj64ELj8ELj2EllffffEEv20rocsparse_direction_T3_S2_llNS_24const_host_device_scalarIT7_EEPKT2_PKS2_PKT4_PKT5_llS5_PT6_ll16rocsparse_order_21rocsparse_index_base_b.has_indirect_call, 0
	.section	.AMDGPU.csdata,"",@progbits
; Kernel info:
; codeLenInByte = 1496
; TotalNumSgprs: 31
; NumVgprs: 54
; ScratchSize: 0
; MemoryBound: 0
; FloatMode: 240
; IeeeMode: 1
; LDSByteSize: 1280 bytes/workgroup (compile time only)
; SGPRBlocks: 0
; VGPRBlocks: 3
; NumSGPRsForWavesPerEU: 31
; NumVGPRsForWavesPerEU: 54
; NamedBarCnt: 0
; Occupancy: 16
; WaveLimiterHint : 1
; COMPUTE_PGM_RSRC2:SCRATCH_EN: 0
; COMPUTE_PGM_RSRC2:USER_SGPR: 2
; COMPUTE_PGM_RSRC2:TRAP_HANDLER: 0
; COMPUTE_PGM_RSRC2:TGID_X_EN: 1
; COMPUTE_PGM_RSRC2:TGID_Y_EN: 1
; COMPUTE_PGM_RSRC2:TGID_Z_EN: 0
; COMPUTE_PGM_RSRC2:TIDIG_COMP_CNT: 0
	.section	.text._ZN9rocsparseL29bsrmmnn_small_blockdim_kernelILj64ELj8ELj2EiiddddEEv20rocsparse_direction_T3_S2_llNS_24const_host_device_scalarIT7_EEPKT2_PKS2_PKT4_PKT5_llS5_PT6_ll16rocsparse_order_21rocsparse_index_base_b,"axG",@progbits,_ZN9rocsparseL29bsrmmnn_small_blockdim_kernelILj64ELj8ELj2EiiddddEEv20rocsparse_direction_T3_S2_llNS_24const_host_device_scalarIT7_EEPKT2_PKS2_PKT4_PKT5_llS5_PT6_ll16rocsparse_order_21rocsparse_index_base_b,comdat
	.globl	_ZN9rocsparseL29bsrmmnn_small_blockdim_kernelILj64ELj8ELj2EiiddddEEv20rocsparse_direction_T3_S2_llNS_24const_host_device_scalarIT7_EEPKT2_PKS2_PKT4_PKT5_llS5_PT6_ll16rocsparse_order_21rocsparse_index_base_b ; -- Begin function _ZN9rocsparseL29bsrmmnn_small_blockdim_kernelILj64ELj8ELj2EiiddddEEv20rocsparse_direction_T3_S2_llNS_24const_host_device_scalarIT7_EEPKT2_PKS2_PKT4_PKT5_llS5_PT6_ll16rocsparse_order_21rocsparse_index_base_b
	.p2align	8
	.type	_ZN9rocsparseL29bsrmmnn_small_blockdim_kernelILj64ELj8ELj2EiiddddEEv20rocsparse_direction_T3_S2_llNS_24const_host_device_scalarIT7_EEPKT2_PKS2_PKT4_PKT5_llS5_PT6_ll16rocsparse_order_21rocsparse_index_base_b,@function
_ZN9rocsparseL29bsrmmnn_small_blockdim_kernelILj64ELj8ELj2EiiddddEEv20rocsparse_direction_T3_S2_llNS_24const_host_device_scalarIT7_EEPKT2_PKS2_PKT4_PKT5_llS5_PT6_ll16rocsparse_order_21rocsparse_index_base_b: ; @_ZN9rocsparseL29bsrmmnn_small_blockdim_kernelILj64ELj8ELj2EiiddddEEv20rocsparse_direction_T3_S2_llNS_24const_host_device_scalarIT7_EEPKT2_PKS2_PKT4_PKT5_llS5_PT6_ll16rocsparse_order_21rocsparse_index_base_b
; %bb.0:
	s_clause 0x2
	s_load_b96 s[16:18], s[0:1], 0x78
	s_load_b64 s[4:5], s[0:1], 0x20
	s_load_b64 s[2:3], s[0:1], 0x58
	s_wait_kmcnt 0x0
	s_bitcmp1_b32 s18, 0
	v_mov_b64_e32 v[2:3], s[4:5]
	s_cselect_b32 s6, -1, 0
	s_delay_alu instid0(SALU_CYCLE_1)
	s_and_b32 vcc_lo, exec_lo, s6
	s_xor_b32 s6, s6, -1
	s_cbranch_vccnz .LBB3_2
; %bb.1:
	v_mov_b32_e32 v1, 0
	flat_load_b64 v[2:3], v1, s[4:5]
.LBB3_2:
	v_mov_b64_e32 v[4:5], s[2:3]
	s_and_not1_b32 vcc_lo, exec_lo, s6
	s_cbranch_vccnz .LBB3_4
; %bb.3:
	s_wait_xcnt 0x0
	v_mov_b32_e32 v1, 0
	flat_load_b64 v[4:5], v1, s[2:3]
.LBB3_4:
	s_wait_loadcnt_dscnt 0x0
	v_cmp_neq_f64_e32 vcc_lo, 0, v[2:3]
	s_delay_alu instid0(VALU_DEP_2) | instskip(SKIP_1) | instid1(SALU_CYCLE_1)
	v_cmp_neq_f64_e64 s2, 1.0, v[4:5]
	s_or_b32 s2, vcc_lo, s2
	s_and_saveexec_b32 s3, s2
	s_cbranch_execz .LBB3_27
; %bb.5:
	s_load_b32 s4, s[0:1], 0x88
	s_bfe_u32 s2, ttmp6, 0x4000c
	s_and_b32 s3, ttmp6, 15
	s_add_co_i32 s2, s2, 1
	s_getreg_b32 s5, hwreg(HW_REG_IB_STS2, 6, 4)
	s_mul_i32 s2, ttmp9, s2
	s_add_nc_u64 s[6:7], s[0:1], 0x88
	s_add_co_i32 s3, s3, s2
	s_cmp_eq_u32 s5, 0
	s_cselect_b32 s8, ttmp9, s3
	s_mov_b32 s3, 0
	s_wait_kmcnt 0x0
	s_cmp_lt_u32 s8, s4
	s_cselect_b32 s2, 12, 18
	s_delay_alu instid0(SALU_CYCLE_1) | instskip(SKIP_4) | instid1(VALU_DEP_1)
	s_add_nc_u64 s[6:7], s[6:7], s[2:3]
	s_load_u16 s2, s[6:7], 0x0
	s_load_b96 s[20:22], s[0:1], 0x0
	s_wait_kmcnt 0x0
	v_mad_u32 v1, s8, s2, v0
	v_lshrrev_b32_e32 v6, 4, v1
	s_delay_alu instid0(VALU_DEP_1)
	v_cmp_gt_i32_e32 vcc_lo, s21, v6
	s_and_b32 exec_lo, exec_lo, vcc_lo
	s_cbranch_execz .LBB3_27
; %bb.6:
	s_bfe_u32 s6, ttmp6, 0x40010
	s_load_b128 s[12:15], s[0:1], 0x60
	s_mul_i32 s4, s4, s2
	s_add_co_i32 s6, s6, 1
	s_lshr_b32 s18, s4, 4
	s_mul_i32 s2, ttmp7, s6
	s_bfe_u32 s4, ttmp6, 0x40004
	v_dual_mov_b32 v7, 0 :: v_dual_bitop2_b32 v18, 7, v1 bitop3:0x40
	s_add_co_i32 s4, s4, s2
	s_cmp_eq_u32 s5, 0
	s_load_b64 s[6:7], s[0:1], 0x48
	s_cselect_b32 s2, ttmp7, s4
	v_dual_mov_b32 v11, v7 :: v_dual_lshrrev_b32 v0, 3, v0
	v_lshl_or_b32 v8, s2, 3, v18
	v_lshrrev_b32_e32 v10, 3, v1
	v_cmp_neq_f64_e64 s2, 0, v[4:5]
	v_bfe_u32 v22, v1, 3, 1
	s_delay_alu instid0(VALU_DEP_4)
	v_dual_ashrrev_i32 v9, 31, v8 :: v_dual_bitop2_b32 v16, -8, v1 bitop3:0x40
	s_wait_kmcnt 0x0
	v_mul_u64_e32 v[10:11], s[14:15], v[10:11]
	v_lshl_or_b32 v19, v0, 5, 0x600
	v_dual_lshlrev_b32 v24, 1, v22 :: v_dual_bitop2_b32 v23, 2, v22 bitop3:0x54
	v_mov_b32_e32 v17, v7
	v_mul_u64_e32 v[12:13], s[14:15], v[8:9]
	v_mul_u32_u24_e32 v20, 0xc0, v0
	s_cmp_eq_u32 s20, 0
	v_lshl_add_u64 v[0:1], v[8:9], 3, s[12:13]
	v_mul_u32_u24_e32 v25, 24, v18
	v_mul_u64_e32 v[14:15], s[6:7], v[8:9]
	s_load_b256 s[4:11], s[0:1], 0x28
	s_cselect_b32 vcc_lo, -1, 0
	s_delay_alu instid0(SALU_CYCLE_1)
	v_dual_cndmask_b32 v22, v22, v24, vcc_lo :: v_dual_bitop2_b32 v26, 1, v24 bitop3:0x54
	v_lshl_or_b32 v21, v18, 2, v19
	s_wait_xcnt 0x0
	v_cmp_gt_i32_e64 s0, s22, v8
	v_subrev_nc_u32_e32 v24, s17, v18
	v_dual_cndmask_b32 v23, v23, v26, vcc_lo :: v_dual_add_nc_u32 v25, v20, v25
	s_cmp_lg_u32 s16, 1
	s_cselect_b32 s1, -1, 0
	v_lshl_add_u64 v[0:1], v[10:11], 3, v[0:1]
	v_lshl_add_u64 v[12:13], v[12:13], 3, s[12:13]
	s_delay_alu instid0(VALU_DEP_1)
	v_add_nc_u64_e32 v[10:11], v[12:13], v[16:17]
	s_wait_kmcnt 0x0
	v_lshl_add_u64 v[8:9], v[14:15], 3, s[10:11]
	s_branch .LBB3_8
.LBB3_7:                                ;   in Loop: Header=BB3_8 Depth=1
	s_wait_xcnt 0x0
	s_or_b32 exec_lo, exec_lo, s10
	v_add_nc_u32_e32 v6, s18, v6
	s_delay_alu instid0(VALU_DEP_1) | instskip(SKIP_1) | instid1(SALU_CYCLE_1)
	v_cmp_le_i32_e32 vcc_lo, s21, v6
	s_or_b32 s3, vcc_lo, s3
	s_and_not1_b32 exec_lo, exec_lo, s3
	s_cbranch_execz .LBB3_27
.LBB3_8:                                ; =>This Loop Header: Depth=1
                                        ;     Child Loop BB3_11 Depth 2
	v_lshl_add_u64 v[12:13], v[6:7], 2, s[4:5]
	s_mov_b32 s10, exec_lo
	global_load_b64 v[14:15], v[12:13], off
	s_wait_xcnt 0x0
	v_mov_b64_e32 v[12:13], 0
	s_wait_loadcnt 0x0
	v_cmpx_lt_i32_e64 v14, v15
	s_cbranch_execz .LBB3_16
; %bb.9:                                ;   in Loop: Header=BB3_8 Depth=1
	v_add_lshl_u32 v16, v24, v14, 2
	v_mov_b64_e32 v[12:13], 0
	v_subrev_nc_u32_e32 v26, s17, v15
	v_subrev_nc_u32_e32 v27, s17, v14
	s_mov_b32 s11, 0
	v_or_b32_e32 v28, v23, v16
	v_or_b32_e32 v29, v22, v16
	s_branch .LBB3_11
.LBB3_10:                               ;   in Loop: Header=BB3_11 Depth=2
	s_wait_xcnt 0x0
	s_or_b32 exec_lo, exec_lo, s12
	v_dual_add_nc_u32 v27, 8, v27 :: v_dual_add_nc_u32 v28, 32, v28
	v_add_nc_u32_e32 v29, 32, v29
	s_delay_alu instid0(VALU_DEP_2) | instskip(SKIP_1) | instid1(SALU_CYCLE_1)
	v_cmp_ge_i32_e32 vcc_lo, v27, v26
	s_or_b32 s11, vcc_lo, s11
	s_and_not1_b32 exec_lo, exec_lo, s11
	s_cbranch_execz .LBB3_15
.LBB3_11:                               ;   Parent Loop BB3_8 Depth=1
                                        ; =>  This Inner Loop Header: Depth=2
	v_mov_b64_e32 v[14:15], 0
	v_mov_b64_e32 v[16:17], 0
	v_dual_mov_b32 v31, 0 :: v_dual_add_nc_u32 v30, v18, v27
	s_mov_b32 s12, exec_lo
	s_delay_alu instid0(VALU_DEP_1)
	v_cmpx_lt_i32_e64 v30, v26
	s_cbranch_execz .LBB3_13
; %bb.12:                               ;   in Loop: Header=BB3_11 Depth=2
	global_load_b32 v31, v30, s[6:7] scale_offset
	s_clause 0x1
	global_load_b64 v[14:15], v29, s[8:9] scale_offset
	global_load_b64 v[16:17], v28, s[8:9] scale_offset
	s_wait_loadcnt 0x2
	s_wait_xcnt 0x2
	v_subrev_nc_u32_e32 v30, s17, v31
	s_delay_alu instid0(VALU_DEP_1)
	v_lshlrev_b32_e32 v31, 1, v30
.LBB3_13:                               ;   in Loop: Header=BB3_11 Depth=2
	s_wait_xcnt 0x0
	s_or_b32 exec_lo, exec_lo, s12
	ds_store_b32 v21, v31
	s_wait_loadcnt 0x0
	ds_store_2addr_b64 v25, v[14:15], v[16:17] offset1:1
	s_wait_dscnt 0x0
	s_barrier_signal -1
	s_barrier_wait -1
	s_and_saveexec_b32 s12, s0
	s_cbranch_execz .LBB3_10
; %bb.14:                               ;   in Loop: Header=BB3_11 Depth=2
	ds_load_b128 v[14:17], v19
	ds_load_b128 v[30:33], v19 offset:16
	ds_load_b128 v[50:53], v20
	s_wait_dscnt 0x2
	v_dual_mov_b32 v34, v14 :: v_dual_ashrrev_i32 v35, 31, v14
	v_dual_mov_b32 v38, v15 :: v_dual_ashrrev_i32 v39, 31, v15
	s_wait_dscnt 0x1
	v_dual_mov_b32 v54, v31 :: v_dual_ashrrev_i32 v55, 31, v31
	s_delay_alu instid0(VALU_DEP_3) | instskip(SKIP_2) | instid1(VALU_DEP_4)
	v_lshl_add_u64 v[34:35], v[34:35], 3, v[8:9]
	v_dual_mov_b32 v46, v30 :: v_dual_ashrrev_i32 v47, 31, v30
	v_lshl_add_u64 v[14:15], v[38:39], 3, v[8:9]
	v_lshl_add_u64 v[30:31], v[54:55], 3, v[8:9]
	global_load_b128 v[34:37], v[34:35], off
	ds_load_2addr_b64 v[54:57], v20 offset0:3 offset1:4
	v_lshl_add_u64 v[46:47], v[46:47], 3, v[8:9]
	s_clause 0x1
	global_load_b128 v[38:41], v[14:15], off
	global_load_b128 v[58:61], v[30:31], off
	s_wait_xcnt 0x1
	v_dual_mov_b32 v14, v16 :: v_dual_ashrrev_i32 v15, 31, v16
	s_wait_xcnt 0x0
	v_dual_mov_b32 v30, v32 :: v_dual_ashrrev_i32 v31, 31, v32
	global_load_b128 v[46:49], v[46:47], off
	v_lshl_add_u64 v[14:15], v[14:15], 3, v[8:9]
	v_lshl_add_u64 v[30:31], v[30:31], 3, v[8:9]
	global_load_b128 v[42:45], v[14:15], off
	s_wait_loadcnt_dscnt 0x401
	v_fmac_f64_e32 v[12:13], v[50:51], v[34:35]
	s_delay_alu instid0(VALU_DEP_1)
	v_fmac_f64_e32 v[12:13], v[52:53], v[36:37]
	global_load_b128 v[34:37], v[30:31], off
	s_wait_xcnt 0x1
	v_dual_mov_b32 v14, v17 :: v_dual_ashrrev_i32 v15, 31, v17
	s_wait_xcnt 0x0
	v_dual_mov_b32 v30, v33 :: v_dual_ashrrev_i32 v31, 31, v33
	s_delay_alu instid0(VALU_DEP_2) | instskip(NEXT) | instid1(VALU_DEP_2)
	v_lshl_add_u64 v[14:15], v[14:15], 3, v[8:9]
	v_lshl_add_u64 v[50:51], v[30:31], 3, v[8:9]
	ds_load_2addr_b64 v[30:33], v20 offset0:9 offset1:10
	s_clause 0x1
	global_load_b128 v[14:17], v[14:15], off
	global_load_b128 v[50:53], v[50:51], off
	s_wait_loadcnt_dscnt 0x601
	v_fmac_f64_e32 v[12:13], v[54:55], v[38:39]
	s_delay_alu instid0(VALU_DEP_1) | instskip(SKIP_3) | instid1(VALU_DEP_1)
	v_fmac_f64_e32 v[12:13], v[56:57], v[40:41]
	ds_load_b128 v[38:41], v20 offset:48
	s_wait_loadcnt_dscnt 0x300
	v_fmac_f64_e32 v[12:13], v[38:39], v[42:43]
	v_fmac_f64_e32 v[12:13], v[40:41], v[44:45]
	s_wait_loadcnt 0x1
	s_delay_alu instid0(VALU_DEP_1) | instskip(NEXT) | instid1(VALU_DEP_1)
	v_fmac_f64_e32 v[12:13], v[30:31], v[14:15]
	v_fmac_f64_e32 v[12:13], v[32:33], v[16:17]
	s_wait_xcnt 0x1
	ds_load_b128 v[14:17], v20 offset:96
	ds_load_2addr_b64 v[30:33], v20 offset0:15 offset1:16
	s_wait_dscnt 0x1
	v_fmac_f64_e32 v[12:13], v[14:15], v[46:47]
	s_delay_alu instid0(VALU_DEP_1) | instskip(SKIP_1) | instid1(VALU_DEP_1)
	v_fmac_f64_e32 v[12:13], v[16:17], v[48:49]
	s_wait_dscnt 0x0
	v_fmac_f64_e32 v[12:13], v[30:31], v[58:59]
	s_delay_alu instid0(VALU_DEP_1) | instskip(SKIP_4) | instid1(VALU_DEP_1)
	v_fmac_f64_e32 v[12:13], v[32:33], v[60:61]
	ds_load_b128 v[14:17], v20 offset:144
	ds_load_2addr_b64 v[30:33], v20 offset0:21 offset1:22
	s_wait_dscnt 0x1
	v_fmac_f64_e32 v[12:13], v[14:15], v[34:35]
	v_fmac_f64_e32 v[12:13], v[16:17], v[36:37]
	s_wait_loadcnt_dscnt 0x0
	s_delay_alu instid0(VALU_DEP_1) | instskip(NEXT) | instid1(VALU_DEP_1)
	v_fmac_f64_e32 v[12:13], v[30:31], v[50:51]
	v_fmac_f64_e32 v[12:13], v[32:33], v[52:53]
	s_branch .LBB3_10
.LBB3_15:                               ;   in Loop: Header=BB3_8 Depth=1
	s_or_b32 exec_lo, exec_lo, s11
.LBB3_16:                               ;   in Loop: Header=BB3_8 Depth=1
	s_delay_alu instid0(SALU_CYCLE_1)
	s_or_b32 exec_lo, exec_lo, s10
	s_and_saveexec_b32 s10, s0
	s_cbranch_execz .LBB3_7
; %bb.17:                               ;   in Loop: Header=BB3_8 Depth=1
	s_delay_alu instid0(VALU_DEP_2) | instskip(SKIP_1) | instid1(SALU_CYCLE_1)
	v_mul_f64_e32 v[12:13], v[2:3], v[12:13]
	s_and_saveexec_b32 s11, s2
	s_xor_b32 s11, exec_lo, s11
	s_cbranch_execz .LBB3_22
; %bb.18:                               ;   in Loop: Header=BB3_8 Depth=1
	s_and_b32 vcc_lo, exec_lo, s1
	s_mov_b32 s12, -1
	s_cbranch_vccz .LBB3_20
; %bb.19:                               ;   in Loop: Header=BB3_8 Depth=1
	global_load_b64 v[14:15], v[0:1], off
	s_mov_b32 s12, 0
	s_wait_loadcnt 0x0
	v_fma_f64 v[14:15], v[4:5], v[14:15], v[12:13]
	global_store_b64 v[0:1], v[14:15], off
.LBB3_20:                               ;   in Loop: Header=BB3_8 Depth=1
	s_and_not1_b32 vcc_lo, exec_lo, s12
	s_cbranch_vccnz .LBB3_22
; %bb.21:                               ;   in Loop: Header=BB3_8 Depth=1
	global_load_b64 v[14:15], v[10:11], off
	s_wait_loadcnt 0x0
	v_fmac_f64_e32 v[12:13], v[4:5], v[14:15]
	global_store_b64 v[10:11], v[12:13], off
                                        ; implicit-def: $vgpr12_vgpr13
.LBB3_22:                               ;   in Loop: Header=BB3_8 Depth=1
	s_wait_xcnt 0x0
	s_and_not1_saveexec_b32 s11, s11
	s_cbranch_execz .LBB3_7
; %bb.23:                               ;   in Loop: Header=BB3_8 Depth=1
	s_and_b32 vcc_lo, exec_lo, s1
	s_mov_b32 s11, -1
	s_cbranch_vccz .LBB3_25
; %bb.24:                               ;   in Loop: Header=BB3_8 Depth=1
	s_mov_b32 s11, 0
	global_store_b64 v[0:1], v[12:13], off
.LBB3_25:                               ;   in Loop: Header=BB3_8 Depth=1
	s_and_not1_b32 vcc_lo, exec_lo, s11
	s_cbranch_vccnz .LBB3_7
; %bb.26:                               ;   in Loop: Header=BB3_8 Depth=1
	global_store_b64 v[10:11], v[12:13], off
	s_branch .LBB3_7
.LBB3_27:
	s_endpgm
	.section	.rodata,"a",@progbits
	.p2align	6, 0x0
	.amdhsa_kernel _ZN9rocsparseL29bsrmmnn_small_blockdim_kernelILj64ELj8ELj2EiiddddEEv20rocsparse_direction_T3_S2_llNS_24const_host_device_scalarIT7_EEPKT2_PKS2_PKT4_PKT5_llS5_PT6_ll16rocsparse_order_21rocsparse_index_base_b
		.amdhsa_group_segment_fixed_size 1792
		.amdhsa_private_segment_fixed_size 0
		.amdhsa_kernarg_size 392
		.amdhsa_user_sgpr_count 2
		.amdhsa_user_sgpr_dispatch_ptr 0
		.amdhsa_user_sgpr_queue_ptr 0
		.amdhsa_user_sgpr_kernarg_segment_ptr 1
		.amdhsa_user_sgpr_dispatch_id 0
		.amdhsa_user_sgpr_kernarg_preload_length 0
		.amdhsa_user_sgpr_kernarg_preload_offset 0
		.amdhsa_user_sgpr_private_segment_size 0
		.amdhsa_wavefront_size32 1
		.amdhsa_uses_dynamic_stack 0
		.amdhsa_enable_private_segment 0
		.amdhsa_system_sgpr_workgroup_id_x 1
		.amdhsa_system_sgpr_workgroup_id_y 1
		.amdhsa_system_sgpr_workgroup_id_z 0
		.amdhsa_system_sgpr_workgroup_info 0
		.amdhsa_system_vgpr_workitem_id 0
		.amdhsa_next_free_vgpr 62
		.amdhsa_next_free_sgpr 23
		.amdhsa_named_barrier_count 0
		.amdhsa_reserve_vcc 1
		.amdhsa_float_round_mode_32 0
		.amdhsa_float_round_mode_16_64 0
		.amdhsa_float_denorm_mode_32 3
		.amdhsa_float_denorm_mode_16_64 3
		.amdhsa_fp16_overflow 0
		.amdhsa_memory_ordered 1
		.amdhsa_forward_progress 1
		.amdhsa_inst_pref_size 13
		.amdhsa_round_robin_scheduling 0
		.amdhsa_exception_fp_ieee_invalid_op 0
		.amdhsa_exception_fp_denorm_src 0
		.amdhsa_exception_fp_ieee_div_zero 0
		.amdhsa_exception_fp_ieee_overflow 0
		.amdhsa_exception_fp_ieee_underflow 0
		.amdhsa_exception_fp_ieee_inexact 0
		.amdhsa_exception_int_div_zero 0
	.end_amdhsa_kernel
	.section	.text._ZN9rocsparseL29bsrmmnn_small_blockdim_kernelILj64ELj8ELj2EiiddddEEv20rocsparse_direction_T3_S2_llNS_24const_host_device_scalarIT7_EEPKT2_PKS2_PKT4_PKT5_llS5_PT6_ll16rocsparse_order_21rocsparse_index_base_b,"axG",@progbits,_ZN9rocsparseL29bsrmmnn_small_blockdim_kernelILj64ELj8ELj2EiiddddEEv20rocsparse_direction_T3_S2_llNS_24const_host_device_scalarIT7_EEPKT2_PKS2_PKT4_PKT5_llS5_PT6_ll16rocsparse_order_21rocsparse_index_base_b,comdat
.Lfunc_end3:
	.size	_ZN9rocsparseL29bsrmmnn_small_blockdim_kernelILj64ELj8ELj2EiiddddEEv20rocsparse_direction_T3_S2_llNS_24const_host_device_scalarIT7_EEPKT2_PKS2_PKT4_PKT5_llS5_PT6_ll16rocsparse_order_21rocsparse_index_base_b, .Lfunc_end3-_ZN9rocsparseL29bsrmmnn_small_blockdim_kernelILj64ELj8ELj2EiiddddEEv20rocsparse_direction_T3_S2_llNS_24const_host_device_scalarIT7_EEPKT2_PKS2_PKT4_PKT5_llS5_PT6_ll16rocsparse_order_21rocsparse_index_base_b
                                        ; -- End function
	.set _ZN9rocsparseL29bsrmmnn_small_blockdim_kernelILj64ELj8ELj2EiiddddEEv20rocsparse_direction_T3_S2_llNS_24const_host_device_scalarIT7_EEPKT2_PKS2_PKT4_PKT5_llS5_PT6_ll16rocsparse_order_21rocsparse_index_base_b.num_vgpr, 62
	.set _ZN9rocsparseL29bsrmmnn_small_blockdim_kernelILj64ELj8ELj2EiiddddEEv20rocsparse_direction_T3_S2_llNS_24const_host_device_scalarIT7_EEPKT2_PKS2_PKT4_PKT5_llS5_PT6_ll16rocsparse_order_21rocsparse_index_base_b.num_agpr, 0
	.set _ZN9rocsparseL29bsrmmnn_small_blockdim_kernelILj64ELj8ELj2EiiddddEEv20rocsparse_direction_T3_S2_llNS_24const_host_device_scalarIT7_EEPKT2_PKS2_PKT4_PKT5_llS5_PT6_ll16rocsparse_order_21rocsparse_index_base_b.numbered_sgpr, 23
	.set _ZN9rocsparseL29bsrmmnn_small_blockdim_kernelILj64ELj8ELj2EiiddddEEv20rocsparse_direction_T3_S2_llNS_24const_host_device_scalarIT7_EEPKT2_PKS2_PKT4_PKT5_llS5_PT6_ll16rocsparse_order_21rocsparse_index_base_b.num_named_barrier, 0
	.set _ZN9rocsparseL29bsrmmnn_small_blockdim_kernelILj64ELj8ELj2EiiddddEEv20rocsparse_direction_T3_S2_llNS_24const_host_device_scalarIT7_EEPKT2_PKS2_PKT4_PKT5_llS5_PT6_ll16rocsparse_order_21rocsparse_index_base_b.private_seg_size, 0
	.set _ZN9rocsparseL29bsrmmnn_small_blockdim_kernelILj64ELj8ELj2EiiddddEEv20rocsparse_direction_T3_S2_llNS_24const_host_device_scalarIT7_EEPKT2_PKS2_PKT4_PKT5_llS5_PT6_ll16rocsparse_order_21rocsparse_index_base_b.uses_vcc, 1
	.set _ZN9rocsparseL29bsrmmnn_small_blockdim_kernelILj64ELj8ELj2EiiddddEEv20rocsparse_direction_T3_S2_llNS_24const_host_device_scalarIT7_EEPKT2_PKS2_PKT4_PKT5_llS5_PT6_ll16rocsparse_order_21rocsparse_index_base_b.uses_flat_scratch, 0
	.set _ZN9rocsparseL29bsrmmnn_small_blockdim_kernelILj64ELj8ELj2EiiddddEEv20rocsparse_direction_T3_S2_llNS_24const_host_device_scalarIT7_EEPKT2_PKS2_PKT4_PKT5_llS5_PT6_ll16rocsparse_order_21rocsparse_index_base_b.has_dyn_sized_stack, 0
	.set _ZN9rocsparseL29bsrmmnn_small_blockdim_kernelILj64ELj8ELj2EiiddddEEv20rocsparse_direction_T3_S2_llNS_24const_host_device_scalarIT7_EEPKT2_PKS2_PKT4_PKT5_llS5_PT6_ll16rocsparse_order_21rocsparse_index_base_b.has_recursion, 0
	.set _ZN9rocsparseL29bsrmmnn_small_blockdim_kernelILj64ELj8ELj2EiiddddEEv20rocsparse_direction_T3_S2_llNS_24const_host_device_scalarIT7_EEPKT2_PKS2_PKT4_PKT5_llS5_PT6_ll16rocsparse_order_21rocsparse_index_base_b.has_indirect_call, 0
	.section	.AMDGPU.csdata,"",@progbits
; Kernel info:
; codeLenInByte = 1544
; TotalNumSgprs: 25
; NumVgprs: 62
; ScratchSize: 0
; MemoryBound: 0
; FloatMode: 240
; IeeeMode: 1
; LDSByteSize: 1792 bytes/workgroup (compile time only)
; SGPRBlocks: 0
; VGPRBlocks: 3
; NumSGPRsForWavesPerEU: 25
; NumVGPRsForWavesPerEU: 62
; NamedBarCnt: 0
; Occupancy: 16
; WaveLimiterHint : 1
; COMPUTE_PGM_RSRC2:SCRATCH_EN: 0
; COMPUTE_PGM_RSRC2:USER_SGPR: 2
; COMPUTE_PGM_RSRC2:TRAP_HANDLER: 0
; COMPUTE_PGM_RSRC2:TGID_X_EN: 1
; COMPUTE_PGM_RSRC2:TGID_Y_EN: 1
; COMPUTE_PGM_RSRC2:TGID_Z_EN: 0
; COMPUTE_PGM_RSRC2:TIDIG_COMP_CNT: 0
	.section	.text._ZN9rocsparseL29bsrmmnn_small_blockdim_kernelILj64ELj8ELj2EliddddEEv20rocsparse_direction_T3_S2_llNS_24const_host_device_scalarIT7_EEPKT2_PKS2_PKT4_PKT5_llS5_PT6_ll16rocsparse_order_21rocsparse_index_base_b,"axG",@progbits,_ZN9rocsparseL29bsrmmnn_small_blockdim_kernelILj64ELj8ELj2EliddddEEv20rocsparse_direction_T3_S2_llNS_24const_host_device_scalarIT7_EEPKT2_PKS2_PKT4_PKT5_llS5_PT6_ll16rocsparse_order_21rocsparse_index_base_b,comdat
	.globl	_ZN9rocsparseL29bsrmmnn_small_blockdim_kernelILj64ELj8ELj2EliddddEEv20rocsparse_direction_T3_S2_llNS_24const_host_device_scalarIT7_EEPKT2_PKS2_PKT4_PKT5_llS5_PT6_ll16rocsparse_order_21rocsparse_index_base_b ; -- Begin function _ZN9rocsparseL29bsrmmnn_small_blockdim_kernelILj64ELj8ELj2EliddddEEv20rocsparse_direction_T3_S2_llNS_24const_host_device_scalarIT7_EEPKT2_PKS2_PKT4_PKT5_llS5_PT6_ll16rocsparse_order_21rocsparse_index_base_b
	.p2align	8
	.type	_ZN9rocsparseL29bsrmmnn_small_blockdim_kernelILj64ELj8ELj2EliddddEEv20rocsparse_direction_T3_S2_llNS_24const_host_device_scalarIT7_EEPKT2_PKS2_PKT4_PKT5_llS5_PT6_ll16rocsparse_order_21rocsparse_index_base_b,@function
_ZN9rocsparseL29bsrmmnn_small_blockdim_kernelILj64ELj8ELj2EliddddEEv20rocsparse_direction_T3_S2_llNS_24const_host_device_scalarIT7_EEPKT2_PKS2_PKT4_PKT5_llS5_PT6_ll16rocsparse_order_21rocsparse_index_base_b: ; @_ZN9rocsparseL29bsrmmnn_small_blockdim_kernelILj64ELj8ELj2EliddddEEv20rocsparse_direction_T3_S2_llNS_24const_host_device_scalarIT7_EEPKT2_PKS2_PKT4_PKT5_llS5_PT6_ll16rocsparse_order_21rocsparse_index_base_b
; %bb.0:
	s_clause 0x2
	s_load_b96 s[16:18], s[0:1], 0x78
	s_load_b64 s[4:5], s[0:1], 0x20
	s_load_b64 s[2:3], s[0:1], 0x58
	s_wait_kmcnt 0x0
	s_bitcmp1_b32 s18, 0
	v_mov_b64_e32 v[4:5], s[4:5]
	s_cselect_b32 s6, -1, 0
	s_delay_alu instid0(SALU_CYCLE_1)
	s_and_b32 vcc_lo, exec_lo, s6
	s_xor_b32 s6, s6, -1
	s_cbranch_vccnz .LBB4_2
; %bb.1:
	v_mov_b32_e32 v1, 0
	flat_load_b64 v[4:5], v1, s[4:5]
.LBB4_2:
	v_mov_b64_e32 v[6:7], s[2:3]
	s_and_not1_b32 vcc_lo, exec_lo, s6
	s_cbranch_vccnz .LBB4_4
; %bb.3:
	s_wait_xcnt 0x0
	v_mov_b32_e32 v1, 0
	flat_load_b64 v[6:7], v1, s[2:3]
.LBB4_4:
	s_wait_loadcnt_dscnt 0x0
	v_cmp_neq_f64_e32 vcc_lo, 0, v[4:5]
	s_delay_alu instid0(VALU_DEP_2) | instskip(SKIP_1) | instid1(SALU_CYCLE_1)
	v_cmp_neq_f64_e64 s2, 1.0, v[6:7]
	s_or_b32 s2, vcc_lo, s2
	s_and_saveexec_b32 s3, s2
	s_cbranch_execz .LBB4_27
; %bb.5:
	s_load_b32 s5, s[0:1], 0x88
	s_bfe_u32 s2, ttmp6, 0x4000c
	s_and_b32 s3, ttmp6, 15
	s_add_co_i32 s2, s2, 1
	s_getreg_b32 s4, hwreg(HW_REG_IB_STS2, 6, 4)
	s_mul_i32 s2, ttmp9, s2
	s_add_nc_u64 s[6:7], s[0:1], 0x88
	s_add_co_i32 s3, s3, s2
	s_cmp_eq_u32 s4, 0
	s_cselect_b32 s8, ttmp9, s3
	s_mov_b32 s3, 0
	s_wait_kmcnt 0x0
	s_cmp_lt_u32 s8, s5
	s_cselect_b32 s2, 12, 18
	s_delay_alu instid0(SALU_CYCLE_1) | instskip(SKIP_4) | instid1(VALU_DEP_1)
	s_add_nc_u64 s[6:7], s[6:7], s[2:3]
	s_load_u16 s2, s[6:7], 0x0
	s_load_b96 s[20:22], s[0:1], 0x0
	s_wait_kmcnt 0x0
	v_mad_u32 v1, s8, s2, v0
	v_lshrrev_b32_e32 v8, 4, v1
	s_delay_alu instid0(VALU_DEP_1)
	v_cmp_gt_i32_e32 vcc_lo, s21, v8
	s_and_b32 exec_lo, exec_lo, vcc_lo
	s_cbranch_execz .LBB4_27
; %bb.6:
	s_mul_i32 s5, s5, s2
	s_bfe_u32 s2, ttmp6, 0x40010
	s_clause 0x1
	s_load_b128 s[12:15], s[0:1], 0x60
	s_load_b64 s[6:7], s[0:1], 0x48
	s_add_co_i32 s2, s2, 1
	s_lshr_b32 s18, s5, 4
	s_mul_i32 s2, ttmp7, s2
	s_bfe_u32 s5, ttmp6, 0x40004
	v_dual_mov_b32 v9, 0 :: v_dual_bitop2_b32 v10, 7, v1 bitop3:0x40
	s_add_co_i32 s5, s5, s2
	s_cmp_eq_u32 s4, 0
	v_lshrrev_b32_e32 v12, 3, v1
	s_cselect_b32 s2, ttmp7, s5
	v_mov_b32_e32 v13, v9
	v_lshl_or_b32 v2, s2, 3, v10
	s_cmp_lg_u32 s16, 1
	v_mul_u32_u24_e32 v26, 24, v10
	s_mov_b32 s2, s17
	s_delay_alu instid0(VALU_DEP_2)
	v_dual_mov_b32 v11, v9 :: v_dual_ashrrev_i32 v3, 31, v2
	v_mov_b32_e32 v21, v9
	s_wait_kmcnt 0x0
	v_mul_u64_e32 v[16:17], s[14:15], v[12:13]
	v_bfe_u32 v12, v1, 3, 1
	v_lshrrev_b32_e32 v13, 3, v0
	v_mul_u64_e32 v[14:15], s[14:15], v[2:3]
	v_mul_u64_e32 v[18:19], s[6:7], v[2:3]
	s_load_b256 s[4:11], s[0:1], 0x28
	s_wait_xcnt 0x0
	v_cmp_neq_f64_e64 s0, 0, v[6:7]
	s_cselect_b32 s14, -1, 0
	s_cmp_eq_u32 s20, 0
	v_mul_u32_u24_e32 v33, 0xc0, v13
	s_cselect_b32 s15, -1, 0
	v_and_b32_e32 v0, -8, v1
	v_cndmask_b32_e64 v20, 0, 1, s15
	v_mov_b32_e32 v1, v9
	v_lshl_add_u64 v[22:23], v[2:3], 3, s[12:13]
	v_add_nc_u32_e32 v35, v33, v26
	v_lshl_or_b32 v32, v13, 5, 0x600
	v_lshlrev_b32_e32 v20, v20, v12
	v_sub_nc_u64_e64 v[12:13], v[10:11], s[2:3]
	v_cmp_gt_i32_e64 s1, s22, v2
	s_delay_alu instid0(VALU_DEP_4) | instskip(NEXT) | instid1(VALU_DEP_4)
	v_lshl_or_b32 v34, v10, 2, v32
	v_lshlrev_b32_e32 v20, 3, v20
	s_wait_kmcnt 0x0
	s_delay_alu instid0(VALU_DEP_1)
	v_add_nc_u64_e32 v[20:21], s[8:9], v[20:21]
	s_and_b32 s8, s15, exec_lo
	s_cselect_b32 s8, 8, 16
	s_mov_b32 s9, s3
	v_lshl_add_u64 v[24:25], v[14:15], 3, s[12:13]
	v_lshl_add_u64 v[14:15], v[16:17], 3, v[22:23]
	;; [unrolled: 1-line block ×3, first 2 shown]
	s_mov_b32 s10, s3
	s_delay_alu instid0(VALU_DEP_3)
	v_add_nc_u64_e32 v[18:19], v[24:25], v[0:1]
	s_branch .LBB4_8
.LBB4_7:                                ;   in Loop: Header=BB4_8 Depth=1
	s_wait_xcnt 0x0
	s_or_b32 exec_lo, exec_lo, s11
	v_add_nc_u32_e32 v8, s18, v8
	s_delay_alu instid0(VALU_DEP_1) | instskip(SKIP_1) | instid1(SALU_CYCLE_1)
	v_cmp_le_i32_e32 vcc_lo, s21, v8
	s_or_b32 s10, vcc_lo, s10
	s_and_not1_b32 exec_lo, exec_lo, s10
	s_cbranch_execz .LBB4_27
.LBB4_8:                                ; =>This Loop Header: Depth=1
                                        ;     Child Loop BB4_11 Depth 2
	v_lshl_add_u64 v[0:1], v[8:9], 3, s[4:5]
	v_mov_b64_e32 v[22:23], 0
	s_mov_b32 s11, exec_lo
	global_load_b128 v[0:3], v[0:1], off
	s_wait_loadcnt 0x0
	s_wait_xcnt 0x0
	v_cmpx_lt_i64_e64 v[0:1], v[2:3]
	s_cbranch_execz .LBB4_16
; %bb.9:                                ;   in Loop: Header=BB4_8 Depth=1
	v_add_nc_u64_e32 v[26:27], v[12:13], v[0:1]
	v_sub_nc_u64_e64 v[2:3], v[2:3], s[2:3]
	v_sub_nc_u64_e64 v[0:1], v[0:1], s[2:3]
	s_mov_b32 s12, 0
	s_delay_alu instid0(VALU_DEP_3) | instskip(SKIP_1) | instid1(VALU_DEP_2)
	v_lshlrev_b64_e32 v[22:23], 5, v[26:27]
	v_lshl_add_u64 v[26:27], v[26:27], 2, s[6:7]
	v_add_nc_u64_e32 v[24:25], v[20:21], v[22:23]
	v_mov_b64_e32 v[22:23], 0
	s_branch .LBB4_11
.LBB4_10:                               ;   in Loop: Header=BB4_11 Depth=2
	s_wait_xcnt 0x0
	s_or_b32 exec_lo, exec_lo, s13
	v_add_nc_u64_e32 v[0:1], 8, v[0:1]
	v_add_nc_u64_e32 v[26:27], 32, v[26:27]
	;; [unrolled: 1-line block ×3, first 2 shown]
	s_delay_alu instid0(VALU_DEP_3) | instskip(SKIP_1) | instid1(SALU_CYCLE_1)
	v_cmp_ge_i64_e32 vcc_lo, v[0:1], v[2:3]
	s_or_b32 s12, vcc_lo, s12
	s_and_not1_b32 exec_lo, exec_lo, s12
	s_cbranch_execz .LBB4_15
.LBB4_11:                               ;   Parent Loop BB4_8 Depth=1
                                        ; =>  This Inner Loop Header: Depth=2
	v_add_nc_u64_e32 v[30:31], v[10:11], v[0:1]
	v_mov_b64_e32 v[28:29], 0
	v_mov_b32_e32 v36, 0
	s_delay_alu instid0(VALU_DEP_3)
	v_cmp_lt_i64_e32 vcc_lo, v[30:31], v[2:3]
	v_mov_b64_e32 v[30:31], 0
	s_and_saveexec_b32 s13, vcc_lo
	s_cbranch_execz .LBB4_13
; %bb.12:                               ;   in Loop: Header=BB4_11 Depth=2
	global_load_b32 v38, v[26:27], off
	v_add_nc_u64_e32 v[36:37], s[8:9], v[24:25]
	s_clause 0x1
	global_load_b64 v[28:29], v[24:25], off
	global_load_b64 v[30:31], v[36:37], off
	s_wait_loadcnt 0x2
	s_wait_xcnt 0x0
	v_subrev_nc_u32_e32 v36, s17, v38
	s_delay_alu instid0(VALU_DEP_1)
	v_lshlrev_b32_e32 v36, 1, v36
.LBB4_13:                               ;   in Loop: Header=BB4_11 Depth=2
	s_or_b32 exec_lo, exec_lo, s13
	ds_store_b32 v34, v36
	s_wait_loadcnt 0x0
	ds_store_2addr_b64 v35, v[28:29], v[30:31] offset1:1
	s_wait_dscnt 0x0
	s_barrier_signal -1
	s_barrier_wait -1
	s_and_saveexec_b32 s13, s1
	s_cbranch_execz .LBB4_10
; %bb.14:                               ;   in Loop: Header=BB4_11 Depth=2
	ds_load_b128 v[28:31], v32
	ds_load_b128 v[36:39], v32 offset:16
	ds_load_b128 v[56:59], v33
	s_wait_dscnt 0x2
	v_dual_mov_b32 v40, v28 :: v_dual_ashrrev_i32 v41, 31, v28
	v_dual_mov_b32 v44, v29 :: v_dual_ashrrev_i32 v45, 31, v29
	s_wait_dscnt 0x1
	v_dual_mov_b32 v60, v37 :: v_dual_ashrrev_i32 v61, 31, v37
	s_delay_alu instid0(VALU_DEP_3) | instskip(SKIP_2) | instid1(VALU_DEP_4)
	v_lshl_add_u64 v[40:41], v[40:41], 3, v[16:17]
	v_dual_mov_b32 v52, v36 :: v_dual_ashrrev_i32 v53, 31, v36
	v_lshl_add_u64 v[28:29], v[44:45], 3, v[16:17]
	v_lshl_add_u64 v[36:37], v[60:61], 3, v[16:17]
	global_load_b128 v[40:43], v[40:41], off
	ds_load_2addr_b64 v[60:63], v33 offset0:3 offset1:4
	v_lshl_add_u64 v[52:53], v[52:53], 3, v[16:17]
	s_clause 0x1
	global_load_b128 v[44:47], v[28:29], off
	global_load_b128 v[64:67], v[36:37], off
	s_wait_xcnt 0x1
	v_dual_mov_b32 v28, v30 :: v_dual_ashrrev_i32 v29, 31, v30
	s_wait_xcnt 0x0
	v_dual_mov_b32 v36, v38 :: v_dual_ashrrev_i32 v37, 31, v38
	global_load_b128 v[52:55], v[52:53], off
	v_lshl_add_u64 v[28:29], v[28:29], 3, v[16:17]
	v_lshl_add_u64 v[36:37], v[36:37], 3, v[16:17]
	global_load_b128 v[48:51], v[28:29], off
	s_wait_loadcnt_dscnt 0x401
	v_fmac_f64_e32 v[22:23], v[56:57], v[40:41]
	s_delay_alu instid0(VALU_DEP_1)
	v_fmac_f64_e32 v[22:23], v[58:59], v[42:43]
	global_load_b128 v[40:43], v[36:37], off
	s_wait_xcnt 0x1
	v_dual_mov_b32 v28, v31 :: v_dual_ashrrev_i32 v29, 31, v31
	s_wait_xcnt 0x0
	v_dual_mov_b32 v36, v39 :: v_dual_ashrrev_i32 v37, 31, v39
	s_delay_alu instid0(VALU_DEP_2) | instskip(NEXT) | instid1(VALU_DEP_2)
	v_lshl_add_u64 v[28:29], v[28:29], 3, v[16:17]
	v_lshl_add_u64 v[56:57], v[36:37], 3, v[16:17]
	ds_load_2addr_b64 v[36:39], v33 offset0:9 offset1:10
	s_clause 0x1
	global_load_b128 v[28:31], v[28:29], off
	global_load_b128 v[56:59], v[56:57], off
	s_wait_loadcnt_dscnt 0x601
	v_fmac_f64_e32 v[22:23], v[60:61], v[44:45]
	s_delay_alu instid0(VALU_DEP_1) | instskip(SKIP_3) | instid1(VALU_DEP_1)
	v_fmac_f64_e32 v[22:23], v[62:63], v[46:47]
	ds_load_b128 v[44:47], v33 offset:48
	s_wait_loadcnt_dscnt 0x300
	v_fmac_f64_e32 v[22:23], v[44:45], v[48:49]
	v_fmac_f64_e32 v[22:23], v[46:47], v[50:51]
	s_wait_loadcnt 0x1
	s_delay_alu instid0(VALU_DEP_1) | instskip(NEXT) | instid1(VALU_DEP_1)
	v_fmac_f64_e32 v[22:23], v[36:37], v[28:29]
	v_fmac_f64_e32 v[22:23], v[38:39], v[30:31]
	s_wait_xcnt 0x1
	ds_load_b128 v[28:31], v33 offset:96
	ds_load_2addr_b64 v[36:39], v33 offset0:15 offset1:16
	s_wait_dscnt 0x1
	v_fmac_f64_e32 v[22:23], v[28:29], v[52:53]
	s_delay_alu instid0(VALU_DEP_1) | instskip(SKIP_1) | instid1(VALU_DEP_1)
	v_fmac_f64_e32 v[22:23], v[30:31], v[54:55]
	s_wait_dscnt 0x0
	v_fmac_f64_e32 v[22:23], v[36:37], v[64:65]
	s_delay_alu instid0(VALU_DEP_1) | instskip(SKIP_4) | instid1(VALU_DEP_1)
	v_fmac_f64_e32 v[22:23], v[38:39], v[66:67]
	ds_load_b128 v[28:31], v33 offset:144
	ds_load_2addr_b64 v[36:39], v33 offset0:21 offset1:22
	s_wait_dscnt 0x1
	v_fmac_f64_e32 v[22:23], v[28:29], v[40:41]
	v_fmac_f64_e32 v[22:23], v[30:31], v[42:43]
	s_wait_loadcnt_dscnt 0x0
	s_delay_alu instid0(VALU_DEP_1) | instskip(NEXT) | instid1(VALU_DEP_1)
	v_fmac_f64_e32 v[22:23], v[36:37], v[56:57]
	v_fmac_f64_e32 v[22:23], v[38:39], v[58:59]
	s_branch .LBB4_10
.LBB4_15:                               ;   in Loop: Header=BB4_8 Depth=1
	s_or_b32 exec_lo, exec_lo, s12
.LBB4_16:                               ;   in Loop: Header=BB4_8 Depth=1
	s_delay_alu instid0(SALU_CYCLE_1)
	s_or_b32 exec_lo, exec_lo, s11
	s_and_saveexec_b32 s11, s1
	s_cbranch_execz .LBB4_7
; %bb.17:                               ;   in Loop: Header=BB4_8 Depth=1
	v_mul_f64_e32 v[0:1], v[4:5], v[22:23]
	s_and_saveexec_b32 s12, s0
	s_delay_alu instid0(SALU_CYCLE_1)
	s_xor_b32 s12, exec_lo, s12
	s_cbranch_execz .LBB4_22
; %bb.18:                               ;   in Loop: Header=BB4_8 Depth=1
	s_and_b32 vcc_lo, exec_lo, s14
	s_mov_b32 s13, -1
	s_cbranch_vccz .LBB4_20
; %bb.19:                               ;   in Loop: Header=BB4_8 Depth=1
	global_load_b64 v[2:3], v[14:15], off
	s_mov_b32 s13, 0
	s_wait_loadcnt 0x0
	v_fma_f64 v[2:3], v[6:7], v[2:3], v[0:1]
	global_store_b64 v[14:15], v[2:3], off
.LBB4_20:                               ;   in Loop: Header=BB4_8 Depth=1
	s_and_not1_b32 vcc_lo, exec_lo, s13
	s_cbranch_vccnz .LBB4_22
; %bb.21:                               ;   in Loop: Header=BB4_8 Depth=1
	global_load_b64 v[2:3], v[18:19], off
	s_wait_loadcnt 0x0
	v_fmac_f64_e32 v[0:1], v[6:7], v[2:3]
	global_store_b64 v[18:19], v[0:1], off
                                        ; implicit-def: $vgpr0_vgpr1
.LBB4_22:                               ;   in Loop: Header=BB4_8 Depth=1
	s_wait_xcnt 0x0
	s_and_not1_saveexec_b32 s12, s12
	s_cbranch_execz .LBB4_7
; %bb.23:                               ;   in Loop: Header=BB4_8 Depth=1
	s_and_b32 vcc_lo, exec_lo, s14
	s_mov_b32 s12, -1
	s_cbranch_vccz .LBB4_25
; %bb.24:                               ;   in Loop: Header=BB4_8 Depth=1
	s_mov_b32 s12, 0
	global_store_b64 v[14:15], v[0:1], off
.LBB4_25:                               ;   in Loop: Header=BB4_8 Depth=1
	s_and_not1_b32 vcc_lo, exec_lo, s12
	s_cbranch_vccnz .LBB4_7
; %bb.26:                               ;   in Loop: Header=BB4_8 Depth=1
	global_store_b64 v[18:19], v[0:1], off
	s_branch .LBB4_7
.LBB4_27:
	s_sendmsg sendmsg(MSG_DEALLOC_VGPRS)
	s_endpgm
	.section	.rodata,"a",@progbits
	.p2align	6, 0x0
	.amdhsa_kernel _ZN9rocsparseL29bsrmmnn_small_blockdim_kernelILj64ELj8ELj2EliddddEEv20rocsparse_direction_T3_S2_llNS_24const_host_device_scalarIT7_EEPKT2_PKS2_PKT4_PKT5_llS5_PT6_ll16rocsparse_order_21rocsparse_index_base_b
		.amdhsa_group_segment_fixed_size 1792
		.amdhsa_private_segment_fixed_size 0
		.amdhsa_kernarg_size 392
		.amdhsa_user_sgpr_count 2
		.amdhsa_user_sgpr_dispatch_ptr 0
		.amdhsa_user_sgpr_queue_ptr 0
		.amdhsa_user_sgpr_kernarg_segment_ptr 1
		.amdhsa_user_sgpr_dispatch_id 0
		.amdhsa_user_sgpr_kernarg_preload_length 0
		.amdhsa_user_sgpr_kernarg_preload_offset 0
		.amdhsa_user_sgpr_private_segment_size 0
		.amdhsa_wavefront_size32 1
		.amdhsa_uses_dynamic_stack 0
		.amdhsa_enable_private_segment 0
		.amdhsa_system_sgpr_workgroup_id_x 1
		.amdhsa_system_sgpr_workgroup_id_y 1
		.amdhsa_system_sgpr_workgroup_id_z 0
		.amdhsa_system_sgpr_workgroup_info 0
		.amdhsa_system_vgpr_workitem_id 0
		.amdhsa_next_free_vgpr 68
		.amdhsa_next_free_sgpr 23
		.amdhsa_named_barrier_count 0
		.amdhsa_reserve_vcc 1
		.amdhsa_float_round_mode_32 0
		.amdhsa_float_round_mode_16_64 0
		.amdhsa_float_denorm_mode_32 3
		.amdhsa_float_denorm_mode_16_64 3
		.amdhsa_fp16_overflow 0
		.amdhsa_memory_ordered 1
		.amdhsa_forward_progress 1
		.amdhsa_inst_pref_size 13
		.amdhsa_round_robin_scheduling 0
		.amdhsa_exception_fp_ieee_invalid_op 0
		.amdhsa_exception_fp_denorm_src 0
		.amdhsa_exception_fp_ieee_div_zero 0
		.amdhsa_exception_fp_ieee_overflow 0
		.amdhsa_exception_fp_ieee_underflow 0
		.amdhsa_exception_fp_ieee_inexact 0
		.amdhsa_exception_int_div_zero 0
	.end_amdhsa_kernel
	.section	.text._ZN9rocsparseL29bsrmmnn_small_blockdim_kernelILj64ELj8ELj2EliddddEEv20rocsparse_direction_T3_S2_llNS_24const_host_device_scalarIT7_EEPKT2_PKS2_PKT4_PKT5_llS5_PT6_ll16rocsparse_order_21rocsparse_index_base_b,"axG",@progbits,_ZN9rocsparseL29bsrmmnn_small_blockdim_kernelILj64ELj8ELj2EliddddEEv20rocsparse_direction_T3_S2_llNS_24const_host_device_scalarIT7_EEPKT2_PKS2_PKT4_PKT5_llS5_PT6_ll16rocsparse_order_21rocsparse_index_base_b,comdat
.Lfunc_end4:
	.size	_ZN9rocsparseL29bsrmmnn_small_blockdim_kernelILj64ELj8ELj2EliddddEEv20rocsparse_direction_T3_S2_llNS_24const_host_device_scalarIT7_EEPKT2_PKS2_PKT4_PKT5_llS5_PT6_ll16rocsparse_order_21rocsparse_index_base_b, .Lfunc_end4-_ZN9rocsparseL29bsrmmnn_small_blockdim_kernelILj64ELj8ELj2EliddddEEv20rocsparse_direction_T3_S2_llNS_24const_host_device_scalarIT7_EEPKT2_PKS2_PKT4_PKT5_llS5_PT6_ll16rocsparse_order_21rocsparse_index_base_b
                                        ; -- End function
	.set _ZN9rocsparseL29bsrmmnn_small_blockdim_kernelILj64ELj8ELj2EliddddEEv20rocsparse_direction_T3_S2_llNS_24const_host_device_scalarIT7_EEPKT2_PKS2_PKT4_PKT5_llS5_PT6_ll16rocsparse_order_21rocsparse_index_base_b.num_vgpr, 68
	.set _ZN9rocsparseL29bsrmmnn_small_blockdim_kernelILj64ELj8ELj2EliddddEEv20rocsparse_direction_T3_S2_llNS_24const_host_device_scalarIT7_EEPKT2_PKS2_PKT4_PKT5_llS5_PT6_ll16rocsparse_order_21rocsparse_index_base_b.num_agpr, 0
	.set _ZN9rocsparseL29bsrmmnn_small_blockdim_kernelILj64ELj8ELj2EliddddEEv20rocsparse_direction_T3_S2_llNS_24const_host_device_scalarIT7_EEPKT2_PKS2_PKT4_PKT5_llS5_PT6_ll16rocsparse_order_21rocsparse_index_base_b.numbered_sgpr, 23
	.set _ZN9rocsparseL29bsrmmnn_small_blockdim_kernelILj64ELj8ELj2EliddddEEv20rocsparse_direction_T3_S2_llNS_24const_host_device_scalarIT7_EEPKT2_PKS2_PKT4_PKT5_llS5_PT6_ll16rocsparse_order_21rocsparse_index_base_b.num_named_barrier, 0
	.set _ZN9rocsparseL29bsrmmnn_small_blockdim_kernelILj64ELj8ELj2EliddddEEv20rocsparse_direction_T3_S2_llNS_24const_host_device_scalarIT7_EEPKT2_PKS2_PKT4_PKT5_llS5_PT6_ll16rocsparse_order_21rocsparse_index_base_b.private_seg_size, 0
	.set _ZN9rocsparseL29bsrmmnn_small_blockdim_kernelILj64ELj8ELj2EliddddEEv20rocsparse_direction_T3_S2_llNS_24const_host_device_scalarIT7_EEPKT2_PKS2_PKT4_PKT5_llS5_PT6_ll16rocsparse_order_21rocsparse_index_base_b.uses_vcc, 1
	.set _ZN9rocsparseL29bsrmmnn_small_blockdim_kernelILj64ELj8ELj2EliddddEEv20rocsparse_direction_T3_S2_llNS_24const_host_device_scalarIT7_EEPKT2_PKS2_PKT4_PKT5_llS5_PT6_ll16rocsparse_order_21rocsparse_index_base_b.uses_flat_scratch, 0
	.set _ZN9rocsparseL29bsrmmnn_small_blockdim_kernelILj64ELj8ELj2EliddddEEv20rocsparse_direction_T3_S2_llNS_24const_host_device_scalarIT7_EEPKT2_PKS2_PKT4_PKT5_llS5_PT6_ll16rocsparse_order_21rocsparse_index_base_b.has_dyn_sized_stack, 0
	.set _ZN9rocsparseL29bsrmmnn_small_blockdim_kernelILj64ELj8ELj2EliddddEEv20rocsparse_direction_T3_S2_llNS_24const_host_device_scalarIT7_EEPKT2_PKS2_PKT4_PKT5_llS5_PT6_ll16rocsparse_order_21rocsparse_index_base_b.has_recursion, 0
	.set _ZN9rocsparseL29bsrmmnn_small_blockdim_kernelILj64ELj8ELj2EliddddEEv20rocsparse_direction_T3_S2_llNS_24const_host_device_scalarIT7_EEPKT2_PKS2_PKT4_PKT5_llS5_PT6_ll16rocsparse_order_21rocsparse_index_base_b.has_indirect_call, 0
	.section	.AMDGPU.csdata,"",@progbits
; Kernel info:
; codeLenInByte = 1588
; TotalNumSgprs: 25
; NumVgprs: 68
; ScratchSize: 0
; MemoryBound: 0
; FloatMode: 240
; IeeeMode: 1
; LDSByteSize: 1792 bytes/workgroup (compile time only)
; SGPRBlocks: 0
; VGPRBlocks: 4
; NumSGPRsForWavesPerEU: 25
; NumVGPRsForWavesPerEU: 68
; NamedBarCnt: 0
; Occupancy: 12
; WaveLimiterHint : 1
; COMPUTE_PGM_RSRC2:SCRATCH_EN: 0
; COMPUTE_PGM_RSRC2:USER_SGPR: 2
; COMPUTE_PGM_RSRC2:TRAP_HANDLER: 0
; COMPUTE_PGM_RSRC2:TGID_X_EN: 1
; COMPUTE_PGM_RSRC2:TGID_Y_EN: 1
; COMPUTE_PGM_RSRC2:TGID_Z_EN: 0
; COMPUTE_PGM_RSRC2:TIDIG_COMP_CNT: 0
	.section	.text._ZN9rocsparseL29bsrmmnn_small_blockdim_kernelILj64ELj8ELj2EllddddEEv20rocsparse_direction_T3_S2_llNS_24const_host_device_scalarIT7_EEPKT2_PKS2_PKT4_PKT5_llS5_PT6_ll16rocsparse_order_21rocsparse_index_base_b,"axG",@progbits,_ZN9rocsparseL29bsrmmnn_small_blockdim_kernelILj64ELj8ELj2EllddddEEv20rocsparse_direction_T3_S2_llNS_24const_host_device_scalarIT7_EEPKT2_PKS2_PKT4_PKT5_llS5_PT6_ll16rocsparse_order_21rocsparse_index_base_b,comdat
	.globl	_ZN9rocsparseL29bsrmmnn_small_blockdim_kernelILj64ELj8ELj2EllddddEEv20rocsparse_direction_T3_S2_llNS_24const_host_device_scalarIT7_EEPKT2_PKS2_PKT4_PKT5_llS5_PT6_ll16rocsparse_order_21rocsparse_index_base_b ; -- Begin function _ZN9rocsparseL29bsrmmnn_small_blockdim_kernelILj64ELj8ELj2EllddddEEv20rocsparse_direction_T3_S2_llNS_24const_host_device_scalarIT7_EEPKT2_PKS2_PKT4_PKT5_llS5_PT6_ll16rocsparse_order_21rocsparse_index_base_b
	.p2align	8
	.type	_ZN9rocsparseL29bsrmmnn_small_blockdim_kernelILj64ELj8ELj2EllddddEEv20rocsparse_direction_T3_S2_llNS_24const_host_device_scalarIT7_EEPKT2_PKS2_PKT4_PKT5_llS5_PT6_ll16rocsparse_order_21rocsparse_index_base_b,@function
_ZN9rocsparseL29bsrmmnn_small_blockdim_kernelILj64ELj8ELj2EllddddEEv20rocsparse_direction_T3_S2_llNS_24const_host_device_scalarIT7_EEPKT2_PKS2_PKT4_PKT5_llS5_PT6_ll16rocsparse_order_21rocsparse_index_base_b: ; @_ZN9rocsparseL29bsrmmnn_small_blockdim_kernelILj64ELj8ELj2EllddddEEv20rocsparse_direction_T3_S2_llNS_24const_host_device_scalarIT7_EEPKT2_PKS2_PKT4_PKT5_llS5_PT6_ll16rocsparse_order_21rocsparse_index_base_b
; %bb.0:
	s_clause 0x2
	s_load_b96 s[20:22], s[0:1], 0x80
	s_load_b64 s[4:5], s[0:1], 0x28
	s_load_b64 s[2:3], s[0:1], 0x60
	s_wait_kmcnt 0x0
	s_bitcmp1_b32 s22, 0
	v_mov_b64_e32 v[4:5], s[4:5]
	s_cselect_b32 s6, -1, 0
	s_delay_alu instid0(SALU_CYCLE_1)
	s_and_b32 vcc_lo, exec_lo, s6
	s_xor_b32 s6, s6, -1
	s_cbranch_vccnz .LBB5_2
; %bb.1:
	v_mov_b32_e32 v1, 0
	flat_load_b64 v[4:5], v1, s[4:5]
.LBB5_2:
	v_mov_b64_e32 v[6:7], s[2:3]
	s_and_not1_b32 vcc_lo, exec_lo, s6
	s_cbranch_vccnz .LBB5_4
; %bb.3:
	s_wait_xcnt 0x0
	v_mov_b32_e32 v1, 0
	flat_load_b64 v[6:7], v1, s[2:3]
.LBB5_4:
	s_wait_loadcnt_dscnt 0x0
	v_cmp_neq_f64_e32 vcc_lo, 0, v[4:5]
	s_delay_alu instid0(VALU_DEP_2) | instskip(SKIP_1) | instid1(SALU_CYCLE_1)
	v_cmp_neq_f64_e64 s2, 1.0, v[6:7]
	s_or_b32 s2, vcc_lo, s2
	s_and_saveexec_b32 s3, s2
	s_cbranch_execz .LBB5_27
; %bb.5:
	s_load_b32 s22, s[0:1], 0x90
	s_bfe_u32 s2, ttmp6, 0x4000c
	s_and_b32 s3, ttmp6, 15
	s_add_co_i32 s2, s2, 1
	s_getreg_b32 s23, hwreg(HW_REG_IB_STS2, 6, 4)
	s_mul_i32 s2, ttmp9, s2
	s_add_nc_u64 s[4:5], s[0:1], 0x90
	s_add_co_i32 s3, s3, s2
	s_cmp_eq_u32 s23, 0
	s_cselect_b32 s6, ttmp9, s3
	s_mov_b32 s3, 0
	s_wait_kmcnt 0x0
	s_cmp_lt_u32 s6, s22
	s_cselect_b32 s2, 12, 18
	s_delay_alu instid0(SALU_CYCLE_1) | instskip(SKIP_4) | instid1(VALU_DEP_1)
	s_add_nc_u64 s[4:5], s[4:5], s[2:3]
	s_load_u16 s2, s[4:5], 0x0
	s_load_b128 s[12:15], s[0:1], 0x8
	s_wait_kmcnt 0x0
	v_mad_u32 v1, s6, s2, v0
	v_dual_mov_b32 v9, 0 :: v_dual_lshrrev_b32 v8, 4, v1
	s_delay_alu instid0(VALU_DEP_1)
	v_cmp_gt_i64_e32 vcc_lo, s[12:13], v[8:9]
	s_and_b32 exec_lo, exec_lo, vcc_lo
	s_cbranch_execz .LBB5_27
; %bb.6:
	s_clause 0x2
	s_load_b256 s[4:11], s[0:1], 0x30
	s_load_b128 s[16:19], s[0:1], 0x68
	s_load_b64 s[24:25], s[0:1], 0x50
	s_bfe_u32 s26, ttmp6, 0x40010
	s_mul_i32 s22, s22, s2
	s_add_co_i32 s26, s26, 1
	s_bfe_u32 s27, ttmp6, 0x40004
	s_mul_i32 s26, ttmp7, s26
	v_mov_b64_e32 v[10:11], v[8:9]
	s_lshr_b32 s2, s22, 4
	s_add_co_i32 s27, s27, s26
	v_dual_mov_b32 v3, v9 :: v_dual_bitop2_b32 v8, 7, v1 bitop3:0x40
	s_cmp_eq_u32 s23, 0
	v_dual_mov_b32 v13, v9 :: v_dual_lshrrev_b32 v12, 3, v1
	s_cselect_b32 s22, ttmp7, s27
	s_cmp_lg_u32 s20, 1
	v_lshl_or_b32 v2, s22, 3, v8
	s_load_b32 s22, s[0:1], 0x0
	s_wait_xcnt 0x0
	v_cmp_neq_f64_e64 s0, 0, v[6:7]
	s_wait_kmcnt 0x0
	v_mul_u64_e32 v[14:15], s[18:19], v[12:13]
	v_dual_lshrrev_b32 v22, 3, v0 :: v_dual_bitop2_b32 v12, 8, v1 bitop3:0x40
	v_mul_u64_e32 v[16:17], s[18:19], v[2:3]
	v_mul_u64_e32 v[18:19], s[24:25], v[2:3]
	v_dual_mov_b32 v1, v9 :: v_dual_bitop2_b32 v0, -8, v1 bitop3:0x40
	s_delay_alu instid0(VALU_DEP_4)
	v_add_nc_u64_e32 v[20:21], s[8:9], v[12:13]
	v_lshl_or_b32 v32, v22, 6, 0x600
	v_mul_u32_u24_e32 v33, 0xc0, v22
	v_mul_u32_u24_e32 v22, 24, v8
	v_add_nc_u64_e32 v[0:1], s[16:17], v[0:1]
	v_cmp_gt_i64_e64 s1, s[14:15], v[2:3]
	v_lshl_add_u64 v[2:3], v[2:3], 3, s[16:17]
	v_add_nc_u64_e32 v[12:13], v[20:21], v[12:13]
	s_cselect_b32 s20, -1, 0
	v_lshl_or_b32 v34, v8, 3, v32
	v_add_nc_u32_e32 v35, v33, v22
	s_cmp_eq_u32 s22, 0
	s_mov_b32 s18, s21
	s_cselect_b32 vcc_lo, -1, 0
	s_mov_b32 s19, s3
	v_dual_cndmask_b32 v13, v21, v13 :: v_dual_cndmask_b32 v12, v20, v12
	s_and_b32 s8, vcc_lo, exec_lo
	s_cselect_b32 s8, 8, 16
	s_mov_b32 s9, s3
	v_lshl_add_u64 v[14:15], v[14:15], 3, v[2:3]
	v_lshl_add_u64 v[16:17], v[16:17], 3, v[0:1]
	;; [unrolled: 1-line block ×3, first 2 shown]
	s_mov_b32 s10, s3
	s_branch .LBB5_8
.LBB5_7:                                ;   in Loop: Header=BB5_8 Depth=1
	s_wait_xcnt 0x0
	s_or_b32 exec_lo, exec_lo, s11
	v_add_nc_u64_e32 v[10:11], s[2:3], v[10:11]
	s_delay_alu instid0(VALU_DEP_1) | instskip(SKIP_1) | instid1(SALU_CYCLE_1)
	v_cmp_le_i64_e32 vcc_lo, s[12:13], v[10:11]
	s_or_b32 s10, vcc_lo, s10
	s_and_not1_b32 exec_lo, exec_lo, s10
	s_cbranch_execz .LBB5_27
.LBB5_8:                                ; =>This Loop Header: Depth=1
                                        ;     Child Loop BB5_11 Depth 2
	v_lshl_add_u64 v[0:1], v[10:11], 3, s[4:5]
	v_mov_b64_e32 v[20:21], 0
	s_mov_b32 s11, exec_lo
	global_load_b128 v[0:3], v[0:1], off
	s_wait_loadcnt 0x0
	s_wait_xcnt 0x0
	v_cmpx_lt_i64_e64 v[0:1], v[2:3]
	s_cbranch_execz .LBB5_16
; %bb.9:                                ;   in Loop: Header=BB5_8 Depth=1
	v_sub_nc_u64_e64 v[20:21], v[8:9], s[18:19]
	v_sub_nc_u64_e64 v[2:3], v[2:3], s[18:19]
	s_mov_b32 s14, 0
	s_delay_alu instid0(VALU_DEP_2) | instskip(SKIP_1) | instid1(VALU_DEP_2)
	v_add_nc_u64_e32 v[24:25], v[20:21], v[0:1]
	v_sub_nc_u64_e64 v[0:1], v[0:1], s[18:19]
	v_lshlrev_b64_e32 v[20:21], 5, v[24:25]
	v_lshl_add_u64 v[24:25], v[24:25], 3, s[6:7]
	s_delay_alu instid0(VALU_DEP_2)
	v_add_nc_u64_e32 v[22:23], v[12:13], v[20:21]
	v_mov_b64_e32 v[20:21], 0
	s_branch .LBB5_11
.LBB5_10:                               ;   in Loop: Header=BB5_11 Depth=2
	s_wait_xcnt 0x0
	s_or_b32 exec_lo, exec_lo, s15
	v_add_nc_u64_e32 v[0:1], 8, v[0:1]
	v_add_nc_u64_e32 v[24:25], 64, v[24:25]
	;; [unrolled: 1-line block ×3, first 2 shown]
	s_delay_alu instid0(VALU_DEP_3) | instskip(SKIP_1) | instid1(SALU_CYCLE_1)
	v_cmp_ge_i64_e32 vcc_lo, v[0:1], v[2:3]
	s_or_b32 s14, vcc_lo, s14
	s_and_not1_b32 exec_lo, exec_lo, s14
	s_cbranch_execz .LBB5_15
.LBB5_11:                               ;   Parent Loop BB5_8 Depth=1
                                        ; =>  This Inner Loop Header: Depth=2
	v_add_nc_u64_e32 v[28:29], v[8:9], v[0:1]
	v_mov_b64_e32 v[30:31], 0
	v_mov_b64_e32 v[26:27], 0
	s_delay_alu instid0(VALU_DEP_3)
	v_cmp_lt_i64_e32 vcc_lo, v[28:29], v[2:3]
	v_mov_b64_e32 v[28:29], 0
	s_and_saveexec_b32 s15, vcc_lo
	s_cbranch_execz .LBB5_13
; %bb.12:                               ;   in Loop: Header=BB5_11 Depth=2
	global_load_b64 v[30:31], v[24:25], off
	v_add_nc_u64_e32 v[36:37], s[8:9], v[22:23]
	s_clause 0x1
	global_load_b64 v[26:27], v[22:23], off
	global_load_b64 v[28:29], v[36:37], off
	s_wait_loadcnt 0x2
	v_sub_nc_u64_e64 v[30:31], v[30:31], s[18:19]
	s_delay_alu instid0(VALU_DEP_1)
	v_lshlrev_b64_e32 v[30:31], 1, v[30:31]
.LBB5_13:                               ;   in Loop: Header=BB5_11 Depth=2
	s_wait_xcnt 0x0
	s_or_b32 exec_lo, exec_lo, s15
	ds_store_b64 v34, v[30:31]
	s_wait_loadcnt 0x0
	ds_store_2addr_b64 v35, v[26:27], v[28:29] offset1:1
	s_wait_dscnt 0x0
	s_barrier_signal -1
	s_barrier_wait -1
	s_and_saveexec_b32 s15, s1
	s_cbranch_execz .LBB5_10
; %bb.14:                               ;   in Loop: Header=BB5_11 Depth=2
	ds_load_b128 v[26:29], v32
	ds_load_b128 v[36:39], v32 offset:16
	s_wait_dscnt 0x1
	v_lshl_add_u64 v[26:27], v[26:27], 3, v[18:19]
	s_wait_dscnt 0x0
	v_lshl_add_u64 v[30:31], v[36:37], 3, v[18:19]
	s_clause 0x1
	global_load_b128 v[40:43], v[26:27], off
	global_load_b128 v[44:47], v[30:31], off
	s_wait_xcnt 0x1
	v_lshl_add_u64 v[26:27], v[28:29], 3, v[18:19]
	s_wait_xcnt 0x0
	v_lshl_add_u64 v[30:31], v[38:39], 3, v[18:19]
	s_clause 0x1
	global_load_b128 v[26:29], v[26:27], off
	global_load_b128 v[36:39], v[30:31], off
	ds_load_b128 v[48:51], v32 offset:32
	ds_load_b128 v[52:55], v32 offset:48
	ds_load_b128 v[60:63], v33
	s_wait_dscnt 0x2
	s_wait_xcnt 0x0
	v_lshl_add_u64 v[30:31], v[48:49], 3, v[18:19]
	global_load_b128 v[56:59], v[30:31], off
	s_wait_xcnt 0x0
	v_lshl_add_u64 v[30:31], v[50:51], 3, v[18:19]
	ds_load_2addr_b64 v[48:51], v33 offset0:3 offset1:4
	global_load_b128 v[64:67], v[30:31], off
	s_wait_dscnt 0x2
	s_wait_xcnt 0x0
	v_lshl_add_u64 v[30:31], v[52:53], 3, v[18:19]
	s_wait_loadcnt_dscnt 0x501
	v_fmac_f64_e32 v[20:21], v[60:61], v[40:41]
	s_delay_alu instid0(VALU_DEP_1)
	v_fmac_f64_e32 v[20:21], v[62:63], v[42:43]
	global_load_b128 v[40:43], v[30:31], off
	s_wait_xcnt 0x0
	v_lshl_add_u64 v[30:31], v[54:55], 3, v[18:19]
	global_load_b128 v[52:55], v[30:31], off
	s_wait_loadcnt_dscnt 0x500
	v_fmac_f64_e32 v[20:21], v[48:49], v[26:27]
	s_delay_alu instid0(VALU_DEP_1) | instskip(SKIP_4) | instid1(VALU_DEP_1)
	v_fmac_f64_e32 v[20:21], v[50:51], v[28:29]
	ds_load_b128 v[26:29], v33 offset:48
	ds_load_2addr_b64 v[48:51], v33 offset0:9 offset1:10
	s_wait_dscnt 0x1
	v_fmac_f64_e32 v[20:21], v[26:27], v[44:45]
	v_fmac_f64_e32 v[20:21], v[28:29], v[46:47]
	s_wait_loadcnt_dscnt 0x400
	s_delay_alu instid0(VALU_DEP_1) | instskip(NEXT) | instid1(VALU_DEP_1)
	v_fmac_f64_e32 v[20:21], v[48:49], v[36:37]
	v_fmac_f64_e32 v[20:21], v[50:51], v[38:39]
	ds_load_b128 v[26:29], v33 offset:96
	ds_load_2addr_b64 v[36:39], v33 offset0:15 offset1:16
	s_wait_loadcnt_dscnt 0x301
	v_fmac_f64_e32 v[20:21], v[26:27], v[56:57]
	s_delay_alu instid0(VALU_DEP_1) | instskip(SKIP_1) | instid1(VALU_DEP_1)
	v_fmac_f64_e32 v[20:21], v[28:29], v[58:59]
	s_wait_loadcnt_dscnt 0x200
	v_fmac_f64_e32 v[20:21], v[36:37], v[64:65]
	s_delay_alu instid0(VALU_DEP_1) | instskip(SKIP_4) | instid1(VALU_DEP_1)
	v_fmac_f64_e32 v[20:21], v[38:39], v[66:67]
	ds_load_b128 v[26:29], v33 offset:144
	ds_load_2addr_b64 v[36:39], v33 offset0:21 offset1:22
	s_wait_loadcnt_dscnt 0x101
	v_fmac_f64_e32 v[20:21], v[26:27], v[40:41]
	v_fmac_f64_e32 v[20:21], v[28:29], v[42:43]
	s_wait_loadcnt_dscnt 0x0
	s_delay_alu instid0(VALU_DEP_1) | instskip(NEXT) | instid1(VALU_DEP_1)
	v_fmac_f64_e32 v[20:21], v[36:37], v[52:53]
	v_fmac_f64_e32 v[20:21], v[38:39], v[54:55]
	s_branch .LBB5_10
.LBB5_15:                               ;   in Loop: Header=BB5_8 Depth=1
	s_or_b32 exec_lo, exec_lo, s14
.LBB5_16:                               ;   in Loop: Header=BB5_8 Depth=1
	s_delay_alu instid0(SALU_CYCLE_1)
	s_or_b32 exec_lo, exec_lo, s11
	s_and_saveexec_b32 s11, s1
	s_cbranch_execz .LBB5_7
; %bb.17:                               ;   in Loop: Header=BB5_8 Depth=1
	v_mul_f64_e32 v[0:1], v[4:5], v[20:21]
	s_and_saveexec_b32 s14, s0
	s_delay_alu instid0(SALU_CYCLE_1)
	s_xor_b32 s14, exec_lo, s14
	s_cbranch_execz .LBB5_22
; %bb.18:                               ;   in Loop: Header=BB5_8 Depth=1
	s_and_b32 vcc_lo, exec_lo, s20
	s_mov_b32 s15, -1
	s_cbranch_vccz .LBB5_20
; %bb.19:                               ;   in Loop: Header=BB5_8 Depth=1
	global_load_b64 v[2:3], v[14:15], off
	s_mov_b32 s15, 0
	s_wait_loadcnt 0x0
	v_fma_f64 v[2:3], v[6:7], v[2:3], v[0:1]
	global_store_b64 v[14:15], v[2:3], off
.LBB5_20:                               ;   in Loop: Header=BB5_8 Depth=1
	s_and_not1_b32 vcc_lo, exec_lo, s15
	s_cbranch_vccnz .LBB5_22
; %bb.21:                               ;   in Loop: Header=BB5_8 Depth=1
	global_load_b64 v[2:3], v[16:17], off
	s_wait_loadcnt 0x0
	v_fmac_f64_e32 v[0:1], v[6:7], v[2:3]
	global_store_b64 v[16:17], v[0:1], off
                                        ; implicit-def: $vgpr0_vgpr1
.LBB5_22:                               ;   in Loop: Header=BB5_8 Depth=1
	s_wait_xcnt 0x0
	s_and_not1_saveexec_b32 s14, s14
	s_cbranch_execz .LBB5_7
; %bb.23:                               ;   in Loop: Header=BB5_8 Depth=1
	s_and_b32 vcc_lo, exec_lo, s20
	s_mov_b32 s14, -1
	s_cbranch_vccz .LBB5_25
; %bb.24:                               ;   in Loop: Header=BB5_8 Depth=1
	s_mov_b32 s14, 0
	global_store_b64 v[14:15], v[0:1], off
.LBB5_25:                               ;   in Loop: Header=BB5_8 Depth=1
	s_and_not1_b32 vcc_lo, exec_lo, s14
	s_cbranch_vccnz .LBB5_7
; %bb.26:                               ;   in Loop: Header=BB5_8 Depth=1
	global_store_b64 v[16:17], v[0:1], off
	s_branch .LBB5_7
.LBB5_27:
	s_sendmsg sendmsg(MSG_DEALLOC_VGPRS)
	s_endpgm
	.section	.rodata,"a",@progbits
	.p2align	6, 0x0
	.amdhsa_kernel _ZN9rocsparseL29bsrmmnn_small_blockdim_kernelILj64ELj8ELj2EllddddEEv20rocsparse_direction_T3_S2_llNS_24const_host_device_scalarIT7_EEPKT2_PKS2_PKT4_PKT5_llS5_PT6_ll16rocsparse_order_21rocsparse_index_base_b
		.amdhsa_group_segment_fixed_size 2048
		.amdhsa_private_segment_fixed_size 0
		.amdhsa_kernarg_size 400
		.amdhsa_user_sgpr_count 2
		.amdhsa_user_sgpr_dispatch_ptr 0
		.amdhsa_user_sgpr_queue_ptr 0
		.amdhsa_user_sgpr_kernarg_segment_ptr 1
		.amdhsa_user_sgpr_dispatch_id 0
		.amdhsa_user_sgpr_kernarg_preload_length 0
		.amdhsa_user_sgpr_kernarg_preload_offset 0
		.amdhsa_user_sgpr_private_segment_size 0
		.amdhsa_wavefront_size32 1
		.amdhsa_uses_dynamic_stack 0
		.amdhsa_enable_private_segment 0
		.amdhsa_system_sgpr_workgroup_id_x 1
		.amdhsa_system_sgpr_workgroup_id_y 1
		.amdhsa_system_sgpr_workgroup_id_z 0
		.amdhsa_system_sgpr_workgroup_info 0
		.amdhsa_system_vgpr_workitem_id 0
		.amdhsa_next_free_vgpr 68
		.amdhsa_next_free_sgpr 28
		.amdhsa_named_barrier_count 0
		.amdhsa_reserve_vcc 1
		.amdhsa_float_round_mode_32 0
		.amdhsa_float_round_mode_16_64 0
		.amdhsa_float_denorm_mode_32 3
		.amdhsa_float_denorm_mode_16_64 3
		.amdhsa_fp16_overflow 0
		.amdhsa_memory_ordered 1
		.amdhsa_forward_progress 1
		.amdhsa_inst_pref_size 13
		.amdhsa_round_robin_scheduling 0
		.amdhsa_exception_fp_ieee_invalid_op 0
		.amdhsa_exception_fp_denorm_src 0
		.amdhsa_exception_fp_ieee_div_zero 0
		.amdhsa_exception_fp_ieee_overflow 0
		.amdhsa_exception_fp_ieee_underflow 0
		.amdhsa_exception_fp_ieee_inexact 0
		.amdhsa_exception_int_div_zero 0
	.end_amdhsa_kernel
	.section	.text._ZN9rocsparseL29bsrmmnn_small_blockdim_kernelILj64ELj8ELj2EllddddEEv20rocsparse_direction_T3_S2_llNS_24const_host_device_scalarIT7_EEPKT2_PKS2_PKT4_PKT5_llS5_PT6_ll16rocsparse_order_21rocsparse_index_base_b,"axG",@progbits,_ZN9rocsparseL29bsrmmnn_small_blockdim_kernelILj64ELj8ELj2EllddddEEv20rocsparse_direction_T3_S2_llNS_24const_host_device_scalarIT7_EEPKT2_PKS2_PKT4_PKT5_llS5_PT6_ll16rocsparse_order_21rocsparse_index_base_b,comdat
.Lfunc_end5:
	.size	_ZN9rocsparseL29bsrmmnn_small_blockdim_kernelILj64ELj8ELj2EllddddEEv20rocsparse_direction_T3_S2_llNS_24const_host_device_scalarIT7_EEPKT2_PKS2_PKT4_PKT5_llS5_PT6_ll16rocsparse_order_21rocsparse_index_base_b, .Lfunc_end5-_ZN9rocsparseL29bsrmmnn_small_blockdim_kernelILj64ELj8ELj2EllddddEEv20rocsparse_direction_T3_S2_llNS_24const_host_device_scalarIT7_EEPKT2_PKS2_PKT4_PKT5_llS5_PT6_ll16rocsparse_order_21rocsparse_index_base_b
                                        ; -- End function
	.set _ZN9rocsparseL29bsrmmnn_small_blockdim_kernelILj64ELj8ELj2EllddddEEv20rocsparse_direction_T3_S2_llNS_24const_host_device_scalarIT7_EEPKT2_PKS2_PKT4_PKT5_llS5_PT6_ll16rocsparse_order_21rocsparse_index_base_b.num_vgpr, 68
	.set _ZN9rocsparseL29bsrmmnn_small_blockdim_kernelILj64ELj8ELj2EllddddEEv20rocsparse_direction_T3_S2_llNS_24const_host_device_scalarIT7_EEPKT2_PKS2_PKT4_PKT5_llS5_PT6_ll16rocsparse_order_21rocsparse_index_base_b.num_agpr, 0
	.set _ZN9rocsparseL29bsrmmnn_small_blockdim_kernelILj64ELj8ELj2EllddddEEv20rocsparse_direction_T3_S2_llNS_24const_host_device_scalarIT7_EEPKT2_PKS2_PKT4_PKT5_llS5_PT6_ll16rocsparse_order_21rocsparse_index_base_b.numbered_sgpr, 28
	.set _ZN9rocsparseL29bsrmmnn_small_blockdim_kernelILj64ELj8ELj2EllddddEEv20rocsparse_direction_T3_S2_llNS_24const_host_device_scalarIT7_EEPKT2_PKS2_PKT4_PKT5_llS5_PT6_ll16rocsparse_order_21rocsparse_index_base_b.num_named_barrier, 0
	.set _ZN9rocsparseL29bsrmmnn_small_blockdim_kernelILj64ELj8ELj2EllddddEEv20rocsparse_direction_T3_S2_llNS_24const_host_device_scalarIT7_EEPKT2_PKS2_PKT4_PKT5_llS5_PT6_ll16rocsparse_order_21rocsparse_index_base_b.private_seg_size, 0
	.set _ZN9rocsparseL29bsrmmnn_small_blockdim_kernelILj64ELj8ELj2EllddddEEv20rocsparse_direction_T3_S2_llNS_24const_host_device_scalarIT7_EEPKT2_PKS2_PKT4_PKT5_llS5_PT6_ll16rocsparse_order_21rocsparse_index_base_b.uses_vcc, 1
	.set _ZN9rocsparseL29bsrmmnn_small_blockdim_kernelILj64ELj8ELj2EllddddEEv20rocsparse_direction_T3_S2_llNS_24const_host_device_scalarIT7_EEPKT2_PKS2_PKT4_PKT5_llS5_PT6_ll16rocsparse_order_21rocsparse_index_base_b.uses_flat_scratch, 0
	.set _ZN9rocsparseL29bsrmmnn_small_blockdim_kernelILj64ELj8ELj2EllddddEEv20rocsparse_direction_T3_S2_llNS_24const_host_device_scalarIT7_EEPKT2_PKS2_PKT4_PKT5_llS5_PT6_ll16rocsparse_order_21rocsparse_index_base_b.has_dyn_sized_stack, 0
	.set _ZN9rocsparseL29bsrmmnn_small_blockdim_kernelILj64ELj8ELj2EllddddEEv20rocsparse_direction_T3_S2_llNS_24const_host_device_scalarIT7_EEPKT2_PKS2_PKT4_PKT5_llS5_PT6_ll16rocsparse_order_21rocsparse_index_base_b.has_recursion, 0
	.set _ZN9rocsparseL29bsrmmnn_small_blockdim_kernelILj64ELj8ELj2EllddddEEv20rocsparse_direction_T3_S2_llNS_24const_host_device_scalarIT7_EEPKT2_PKS2_PKT4_PKT5_llS5_PT6_ll16rocsparse_order_21rocsparse_index_base_b.has_indirect_call, 0
	.section	.AMDGPU.csdata,"",@progbits
; Kernel info:
; codeLenInByte = 1540
; TotalNumSgprs: 30
; NumVgprs: 68
; ScratchSize: 0
; MemoryBound: 0
; FloatMode: 240
; IeeeMode: 1
; LDSByteSize: 2048 bytes/workgroup (compile time only)
; SGPRBlocks: 0
; VGPRBlocks: 4
; NumSGPRsForWavesPerEU: 30
; NumVGPRsForWavesPerEU: 68
; NamedBarCnt: 0
; Occupancy: 12
; WaveLimiterHint : 1
; COMPUTE_PGM_RSRC2:SCRATCH_EN: 0
; COMPUTE_PGM_RSRC2:USER_SGPR: 2
; COMPUTE_PGM_RSRC2:TRAP_HANDLER: 0
; COMPUTE_PGM_RSRC2:TGID_X_EN: 1
; COMPUTE_PGM_RSRC2:TGID_Y_EN: 1
; COMPUTE_PGM_RSRC2:TGID_Z_EN: 0
; COMPUTE_PGM_RSRC2:TIDIG_COMP_CNT: 0
	.section	.text._ZN9rocsparseL29bsrmmnn_small_blockdim_kernelILj64ELj8ELj2Eii21rocsparse_complex_numIfES2_S2_S2_EEv20rocsparse_direction_T3_S4_llNS_24const_host_device_scalarIT7_EEPKT2_PKS4_PKT4_PKT5_llS7_PT6_ll16rocsparse_order_21rocsparse_index_base_b,"axG",@progbits,_ZN9rocsparseL29bsrmmnn_small_blockdim_kernelILj64ELj8ELj2Eii21rocsparse_complex_numIfES2_S2_S2_EEv20rocsparse_direction_T3_S4_llNS_24const_host_device_scalarIT7_EEPKT2_PKS4_PKT4_PKT5_llS7_PT6_ll16rocsparse_order_21rocsparse_index_base_b,comdat
	.globl	_ZN9rocsparseL29bsrmmnn_small_blockdim_kernelILj64ELj8ELj2Eii21rocsparse_complex_numIfES2_S2_S2_EEv20rocsparse_direction_T3_S4_llNS_24const_host_device_scalarIT7_EEPKT2_PKS4_PKT4_PKT5_llS7_PT6_ll16rocsparse_order_21rocsparse_index_base_b ; -- Begin function _ZN9rocsparseL29bsrmmnn_small_blockdim_kernelILj64ELj8ELj2Eii21rocsparse_complex_numIfES2_S2_S2_EEv20rocsparse_direction_T3_S4_llNS_24const_host_device_scalarIT7_EEPKT2_PKS4_PKT4_PKT5_llS7_PT6_ll16rocsparse_order_21rocsparse_index_base_b
	.p2align	8
	.type	_ZN9rocsparseL29bsrmmnn_small_blockdim_kernelILj64ELj8ELj2Eii21rocsparse_complex_numIfES2_S2_S2_EEv20rocsparse_direction_T3_S4_llNS_24const_host_device_scalarIT7_EEPKT2_PKS4_PKT4_PKT5_llS7_PT6_ll16rocsparse_order_21rocsparse_index_base_b,@function
_ZN9rocsparseL29bsrmmnn_small_blockdim_kernelILj64ELj8ELj2Eii21rocsparse_complex_numIfES2_S2_S2_EEv20rocsparse_direction_T3_S4_llNS_24const_host_device_scalarIT7_EEPKT2_PKS4_PKT4_PKT5_llS7_PT6_ll16rocsparse_order_21rocsparse_index_base_b: ; @_ZN9rocsparseL29bsrmmnn_small_blockdim_kernelILj64ELj8ELj2Eii21rocsparse_complex_numIfES2_S2_S2_EEv20rocsparse_direction_T3_S4_llNS_24const_host_device_scalarIT7_EEPKT2_PKS4_PKT4_PKT5_llS7_PT6_ll16rocsparse_order_21rocsparse_index_base_b
; %bb.0:
	s_clause 0x2
	s_load_b96 s[16:18], s[0:1], 0x78
	s_load_b64 s[2:3], s[0:1], 0x20
	s_load_b64 s[4:5], s[0:1], 0x58
	v_mov_b32_e32 v1, 0
	s_add_nc_u64 s[6:7], s[0:1], 32
	s_add_nc_u64 s[8:9], s[0:1], 0x58
	s_wait_kmcnt 0x0
	s_bitcmp1_b32 s18, 0
	s_cselect_b32 s3, s7, s3
	s_cselect_b32 s2, s6, s2
	;; [unrolled: 1-line block ×4, first 2 shown]
	s_clause 0x1
	flat_load_b64 v[2:3], v1, s[2:3]
	flat_load_b64 v[4:5], v1, s[4:5]
	s_wait_loadcnt_dscnt 0x101
	s_wait_xcnt 0x1
	v_cmp_eq_f32_e64 s2, 0, v2
	v_cmp_eq_f32_e64 s3, 0, v3
	s_wait_loadcnt_dscnt 0x0
	v_cmp_eq_f32_e64 s4, 1.0, v4
	v_cmp_eq_f32_e32 vcc_lo, 0, v5
	s_and_b32 s2, s2, s3
	s_and_b32 s3, s4, vcc_lo
	s_delay_alu instid0(SALU_CYCLE_1) | instskip(SKIP_2) | instid1(SALU_CYCLE_1)
	s_and_b32 s2, s2, s3
	s_mov_b32 s3, 0
	s_xor_b32 s2, s2, -1
	s_and_saveexec_b32 s4, s2
	s_cbranch_execz .LBB6_23
; %bb.1:
	s_load_b32 s5, s[0:1], 0x88
	s_bfe_u32 s2, ttmp6, 0x4000c
	s_and_b32 s6, ttmp6, 15
	s_add_co_i32 s2, s2, 1
	s_getreg_b32 s4, hwreg(HW_REG_IB_STS2, 6, 4)
	s_mul_i32 s2, ttmp9, s2
	s_delay_alu instid0(SALU_CYCLE_1)
	s_add_co_i32 s6, s6, s2
	s_cmp_eq_u32 s4, 0
	s_cselect_b32 s8, ttmp9, s6
	s_add_nc_u64 s[6:7], s[0:1], 0x88
	s_wait_kmcnt 0x0
	s_cmp_lt_u32 s8, s5
	s_cselect_b32 s2, 12, 18
	s_delay_alu instid0(SALU_CYCLE_1) | instskip(SKIP_4) | instid1(VALU_DEP_1)
	s_add_nc_u64 s[6:7], s[6:7], s[2:3]
	s_load_u16 s3, s[6:7], 0x0
	s_load_b96 s[20:22], s[0:1], 0x0
	s_wait_kmcnt 0x0
	v_mad_u32 v1, s8, s3, v0
	v_lshrrev_b32_e32 v6, 4, v1
	s_delay_alu instid0(VALU_DEP_1)
	v_cmp_gt_i32_e64 s2, s21, v6
	s_and_b32 exec_lo, exec_lo, s2
	s_cbranch_execz .LBB6_23
; %bb.2:
	s_bfe_u32 s2, ttmp6, 0x40010
	s_clause 0x1
	s_load_b128 s[12:15], s[0:1], 0x60
	s_load_b64 s[6:7], s[0:1], 0x48
	s_mul_i32 s5, s5, s3
	s_add_co_i32 s3, s2, 1
	s_lshr_b32 s2, s5, 4
	s_mul_i32 s3, ttmp7, s3
	s_bfe_u32 s5, ttmp6, 0x40004
	v_dual_mov_b32 v7, 0 :: v_dual_bitop2_b32 v22, 7, v1 bitop3:0x40
	s_add_co_i32 s5, s5, s3
	s_cmp_eq_u32 s4, 0
	v_lshrrev_b32_e32 v19, 3, v0
	s_cselect_b32 s3, ttmp7, s5
	v_mov_b32_e32 v9, v7
	v_lshl_or_b32 v10, s3, 3, v22
	v_lshrrev_b32_e32 v8, 3, v1
	s_cmp_eq_u32 s20, 0
	v_and_b32_e32 v18, -8, v1
	v_lshl_or_b32 v23, v19, 5, 0x600
	v_ashrrev_i32_e32 v11, 31, v10
	s_wait_kmcnt 0x0
	v_mul_u64_e32 v[14:15], s[14:15], v[8:9]
	v_bfe_u32 v9, v1, 3, 1
	v_mul_u32_u24_e32 v24, 0xc0, v19
	v_mul_u32_u24_e32 v30, 24, v22
	v_mul_u64_e32 v[12:13], s[14:15], v[10:11]
	v_mul_u64_e32 v[16:17], s[6:7], v[10:11]
	s_load_b256 s[4:11], s[0:1], 0x28
	v_dual_lshlrev_b32 v20, 1, v9 :: v_dual_bitop2_b32 v27, 2, v9 bitop3:0x54
	s_wait_xcnt 0x0
	s_cselect_b32 s1, -1, 0
	v_cmp_neq_f32_e64 s0, 0, v4
	v_mov_b32_e32 v19, v7
	s_xor_b32 s3, vcc_lo, -1
	v_dual_cndmask_b32 v26, v9, v20, s1 :: v_dual_bitop2_b32 v31, 1, v20 bitop3:0x54
	v_lshl_add_u64 v[20:21], v[10:11], 3, s[12:13]
	v_mov_b32_e32 v1, v2
	s_or_b32 s3, s0, s3
	v_cmp_gt_i32_e64 s0, s22, v10
	v_xor_b32_e32 v0, 0x80000000, v3
	v_xor_b32_e32 v8, 0x80000000, v5
	v_lshl_or_b32 v25, v22, 2, v23
	v_dual_cndmask_b32 v27, v27, v31, s1 :: v_dual_mov_b32 v9, v4
	s_cmp_lg_u32 s16, 1
	s_mov_b32 s1, 0
	v_lshl_add_u64 v[10:11], v[14:15], 3, v[20:21]
	v_lshl_add_u64 v[28:29], v[12:13], 3, s[12:13]
	s_wait_kmcnt 0x0
	v_lshl_add_u64 v[12:13], v[16:17], 3, s[10:11]
	s_cselect_b32 s10, -1, 0
	s_delay_alu instid0(VALU_DEP_2)
	v_add_nc_u64_e32 v[14:15], v[28:29], v[18:19]
	v_subrev_nc_u32_e32 v28, s17, v22
	v_add_nc_u32_e32 v29, v24, v30
	s_branch .LBB6_4
.LBB6_3:                                ;   in Loop: Header=BB6_4 Depth=1
	s_wait_xcnt 0x0
	s_or_b32 exec_lo, exec_lo, s11
	v_add_nc_u32_e32 v6, s2, v6
	s_delay_alu instid0(VALU_DEP_1) | instskip(SKIP_1) | instid1(SALU_CYCLE_1)
	v_cmp_le_i32_e32 vcc_lo, s21, v6
	s_or_b32 s1, vcc_lo, s1
	s_and_not1_b32 exec_lo, exec_lo, s1
	s_cbranch_execz .LBB6_23
.LBB6_4:                                ; =>This Loop Header: Depth=1
                                        ;     Child Loop BB6_7 Depth 2
	v_lshl_add_u64 v[16:17], v[6:7], 2, s[4:5]
	s_mov_b32 s11, exec_lo
	global_load_b64 v[18:19], v[16:17], off
	s_wait_xcnt 0x0
	v_dual_mov_b32 v17, 0 :: v_dual_mov_b32 v16, 0
	s_wait_loadcnt 0x0
	v_cmpx_lt_i32_e64 v18, v19
	s_cbranch_execz .LBB6_12
; %bb.5:                                ;   in Loop: Header=BB6_4 Depth=1
	v_add_lshl_u32 v17, v28, v18, 2
	v_mov_b32_e32 v16, 0
	v_subrev_nc_u32_e32 v30, s17, v19
	v_subrev_nc_u32_e32 v31, s17, v18
	s_mov_b32 s12, 0
	v_or_b32_e32 v32, v27, v17
	v_dual_mov_b32 v17, v16 :: v_dual_bitop2_b32 v33, v26, v17 bitop3:0x54
	s_branch .LBB6_7
.LBB6_6:                                ;   in Loop: Header=BB6_7 Depth=2
	s_or_b32 exec_lo, exec_lo, s13
	v_dual_add_nc_u32 v31, 8, v31 :: v_dual_add_nc_u32 v32, 32, v32
	v_add_nc_u32_e32 v33, 32, v33
	s_delay_alu instid0(VALU_DEP_2) | instskip(SKIP_1) | instid1(SALU_CYCLE_1)
	v_cmp_ge_i32_e32 vcc_lo, v31, v30
	s_or_b32 s12, vcc_lo, s12
	s_and_not1_b32 exec_lo, exec_lo, s12
	s_cbranch_execz .LBB6_11
.LBB6_7:                                ;   Parent Loop BB6_4 Depth=1
                                        ; =>  This Inner Loop Header: Depth=2
	v_dual_mov_b32 v34, 0 :: v_dual_add_nc_u32 v35, v22, v31
	v_dual_mov_b32 v18, 0 :: v_dual_mov_b32 v19, 0
	v_dual_mov_b32 v20, 0 :: v_dual_mov_b32 v21, 0
	s_mov_b32 s13, exec_lo
	s_delay_alu instid0(VALU_DEP_3)
	v_cmpx_lt_i32_e64 v35, v30
	s_cbranch_execz .LBB6_9
; %bb.8:                                ;   in Loop: Header=BB6_7 Depth=2
	global_load_b32 v34, v35, s[6:7] scale_offset
	s_clause 0x1
	global_load_b64 v[18:19], v33, s[8:9] scale_offset
	global_load_b64 v[20:21], v32, s[8:9] scale_offset
	s_wait_loadcnt 0x2
	v_subrev_nc_u32_e32 v34, s17, v34
	s_delay_alu instid0(VALU_DEP_1)
	v_lshlrev_b32_e32 v34, 1, v34
.LBB6_9:                                ;   in Loop: Header=BB6_7 Depth=2
	s_wait_xcnt 0x0
	s_or_b32 exec_lo, exec_lo, s13
	ds_store_b32 v25, v34
	s_wait_loadcnt 0x0
	ds_store_2addr_b64 v29, v[18:19], v[20:21] offset1:1
	s_wait_dscnt 0x0
	s_barrier_signal -1
	s_barrier_wait -1
	s_and_saveexec_b32 s13, s0
	s_cbranch_execz .LBB6_6
; %bb.10:                               ;   in Loop: Header=BB6_7 Depth=2
	ds_load_b128 v[18:21], v23
	ds_load_b128 v[34:37], v23 offset:16
	s_wait_dscnt 0x1
	v_dual_mov_b32 v38, v18 :: v_dual_ashrrev_i32 v39, 31, v18
	v_dual_mov_b32 v42, v19 :: v_dual_ashrrev_i32 v43, 31, v19
	s_delay_alu instid0(VALU_DEP_2) | instskip(NEXT) | instid1(VALU_DEP_2)
	v_lshl_add_u64 v[38:39], v[38:39], 3, v[12:13]
	v_lshl_add_u64 v[18:19], v[42:43], 3, v[12:13]
	s_clause 0x1
	global_load_b128 v[38:41], v[38:39], off
	global_load_b128 v[42:45], v[18:19], off
	ds_load_b128 v[46:49], v24
	ds_load_b128 v[50:53], v24 offset:48
	s_wait_dscnt 0x1
	s_wait_xcnt 0x0
	v_xor_b32_e32 v18, 0x80000000, v49
	v_mov_b32_e32 v19, v48
	s_wait_dscnt 0x0
	v_xor_b32_e32 v54, 0x80000000, v53
	s_wait_loadcnt 0x1
	v_pk_fma_f32 v[16:17], v[46:47], v[38:39], v[16:17] op_sel_hi:[1,0,1]
	s_delay_alu instid0(VALU_DEP_1) | instskip(SKIP_1) | instid1(VALU_DEP_2)
	v_pk_fma_f32 v[16:17], v[46:47], v[38:39], v[16:17] op_sel:[1,1,0] op_sel_hi:[0,1,1] neg_lo:[1,0,0]
	v_mov_b32_e32 v38, v41
	v_pk_fma_f32 v[16:17], v[48:49], v[40:41], v[16:17] op_sel_hi:[1,0,1]
	s_delay_alu instid0(VALU_DEP_1) | instskip(SKIP_3) | instid1(VALU_DEP_1)
	v_pk_fma_f32 v[38:39], v[18:19], v[38:39], v[16:17] op_sel_hi:[1,0,1]
	ds_load_2addr_b64 v[16:19], v24 offset0:3 offset1:4
	s_wait_loadcnt_dscnt 0x0
	v_pk_fma_f32 v[38:39], v[16:17], v[42:43], v[38:39] op_sel_hi:[1,0,1]
	v_pk_fma_f32 v[16:17], v[16:17], v[42:43], v[38:39] op_sel:[1,1,0] op_sel_hi:[0,1,1] neg_lo:[1,0,0]
	v_xor_b32_e32 v38, 0x80000000, v19
	v_mov_b32_e32 v39, v18
	s_delay_alu instid0(VALU_DEP_3) | instskip(SKIP_1) | instid1(VALU_DEP_1)
	v_pk_fma_f32 v[16:17], v[18:19], v[44:45], v[16:17] op_sel_hi:[1,0,1]
	v_mov_b32_e32 v18, v45
	v_pk_fma_f32 v[38:39], v[38:39], v[18:19], v[16:17] op_sel_hi:[1,0,1]
	v_dual_mov_b32 v16, v20 :: v_dual_ashrrev_i32 v17, 31, v20
	s_delay_alu instid0(VALU_DEP_1)
	v_lshl_add_u64 v[16:17], v[16:17], 3, v[12:13]
	global_load_b128 v[16:19], v[16:17], off
	v_mov_b32_e32 v55, v52
	s_wait_loadcnt 0x0
	v_pk_fma_f32 v[38:39], v[50:51], v[16:17], v[38:39] op_sel_hi:[1,0,1]
	s_wait_xcnt 0x0
	s_delay_alu instid0(VALU_DEP_1) | instskip(SKIP_1) | instid1(VALU_DEP_2)
	v_pk_fma_f32 v[16:17], v[50:51], v[16:17], v[38:39] op_sel:[1,1,0] op_sel_hi:[0,1,1] neg_lo:[1,0,0]
	v_dual_mov_b32 v38, v21 :: v_dual_ashrrev_i32 v39, 31, v21
	v_pk_fma_f32 v[16:17], v[52:53], v[18:19], v[16:17] op_sel_hi:[1,0,1]
	v_mov_b32_e32 v18, v19
	s_delay_alu instid0(VALU_DEP_3) | instskip(SKIP_3) | instid1(VALU_DEP_1)
	v_lshl_add_u64 v[20:21], v[38:39], 3, v[12:13]
	global_load_b128 v[38:41], v[20:21], off
	s_wait_xcnt 0x0
	v_dual_mov_b32 v20, v34 :: v_dual_ashrrev_i32 v21, 31, v34
	v_lshl_add_u64 v[20:21], v[20:21], 3, v[12:13]
	global_load_b128 v[42:45], v[20:21], off
	s_wait_xcnt 0x0
	v_dual_mov_b32 v20, v35 :: v_dual_ashrrev_i32 v21, 31, v35
	s_delay_alu instid0(VALU_DEP_1)
	v_lshl_add_u64 v[20:21], v[20:21], 3, v[12:13]
	global_load_b128 v[46:49], v[20:21], off
	s_wait_xcnt 0x0
	v_pk_fma_f32 v[20:21], v[54:55], v[18:19], v[16:17] op_sel_hi:[1,0,1]
	ds_load_2addr_b64 v[16:19], v24 offset0:9 offset1:10
	s_wait_loadcnt_dscnt 0x200
	v_pk_fma_f32 v[20:21], v[16:17], v[38:39], v[20:21] op_sel_hi:[1,0,1]
	s_delay_alu instid0(VALU_DEP_1) | instskip(SKIP_2) | instid1(VALU_DEP_3)
	v_pk_fma_f32 v[16:17], v[16:17], v[38:39], v[20:21] op_sel:[1,1,0] op_sel_hi:[0,1,1] neg_lo:[1,0,0]
	v_xor_b32_e32 v20, 0x80000000, v19
	v_mov_b32_e32 v21, v18
	v_pk_fma_f32 v[16:17], v[18:19], v[40:41], v[16:17] op_sel_hi:[1,0,1]
	v_mov_b32_e32 v18, v41
	s_delay_alu instid0(VALU_DEP_1) | instskip(SKIP_3) | instid1(VALU_DEP_1)
	v_pk_fma_f32 v[20:21], v[20:21], v[18:19], v[16:17] op_sel_hi:[1,0,1]
	ds_load_b128 v[16:19], v24 offset:96
	s_wait_loadcnt_dscnt 0x100
	v_pk_fma_f32 v[20:21], v[16:17], v[42:43], v[20:21] op_sel_hi:[1,0,1]
	v_pk_fma_f32 v[16:17], v[16:17], v[42:43], v[20:21] op_sel:[1,1,0] op_sel_hi:[0,1,1] neg_lo:[1,0,0]
	v_xor_b32_e32 v20, 0x80000000, v19
	v_mov_b32_e32 v21, v18
	s_delay_alu instid0(VALU_DEP_3) | instskip(SKIP_1) | instid1(VALU_DEP_1)
	v_pk_fma_f32 v[16:17], v[18:19], v[44:45], v[16:17] op_sel_hi:[1,0,1]
	v_mov_b32_e32 v18, v45
	v_pk_fma_f32 v[20:21], v[20:21], v[18:19], v[16:17] op_sel_hi:[1,0,1]
	ds_load_2addr_b64 v[16:19], v24 offset0:15 offset1:16
	s_wait_loadcnt_dscnt 0x0
	v_pk_fma_f32 v[20:21], v[16:17], v[46:47], v[20:21] op_sel_hi:[1,0,1]
	s_delay_alu instid0(VALU_DEP_1) | instskip(SKIP_1) | instid1(VALU_DEP_2)
	v_pk_fma_f32 v[16:17], v[16:17], v[46:47], v[20:21] op_sel:[1,1,0] op_sel_hi:[0,1,1] neg_lo:[1,0,0]
	v_dual_mov_b32 v20, v36 :: v_dual_ashrrev_i32 v21, 31, v36
	v_pk_fma_f32 v[16:17], v[18:19], v[48:49], v[16:17] op_sel_hi:[1,0,1]
	s_delay_alu instid0(VALU_DEP_2) | instskip(SKIP_3) | instid1(VALU_DEP_1)
	v_lshl_add_u64 v[20:21], v[20:21], 3, v[12:13]
	global_load_b128 v[38:41], v[20:21], off
	s_wait_xcnt 0x0
	v_dual_mov_b32 v20, v37 :: v_dual_ashrrev_i32 v21, 31, v37
	v_lshl_add_u64 v[20:21], v[20:21], 3, v[12:13]
	global_load_b128 v[34:37], v[20:21], off
	s_wait_xcnt 0x0
	v_xor_b32_e32 v20, 0x80000000, v19
	v_dual_mov_b32 v21, v18 :: v_dual_mov_b32 v18, v49
	s_delay_alu instid0(VALU_DEP_1) | instskip(SKIP_3) | instid1(VALU_DEP_1)
	v_pk_fma_f32 v[20:21], v[20:21], v[18:19], v[16:17] op_sel_hi:[1,0,1]
	ds_load_b128 v[16:19], v24 offset:144
	s_wait_loadcnt_dscnt 0x100
	v_pk_fma_f32 v[20:21], v[16:17], v[38:39], v[20:21] op_sel_hi:[1,0,1]
	v_pk_fma_f32 v[16:17], v[16:17], v[38:39], v[20:21] op_sel:[1,1,0] op_sel_hi:[0,1,1] neg_lo:[1,0,0]
	v_xor_b32_e32 v20, 0x80000000, v19
	v_mov_b32_e32 v21, v18
	s_delay_alu instid0(VALU_DEP_3) | instskip(SKIP_1) | instid1(VALU_DEP_1)
	v_pk_fma_f32 v[16:17], v[18:19], v[40:41], v[16:17] op_sel_hi:[1,0,1]
	v_mov_b32_e32 v18, v41
	v_pk_fma_f32 v[20:21], v[20:21], v[18:19], v[16:17] op_sel_hi:[1,0,1]
	ds_load_2addr_b64 v[16:19], v24 offset0:21 offset1:22
	s_wait_loadcnt_dscnt 0x0
	v_pk_fma_f32 v[20:21], v[16:17], v[34:35], v[20:21] op_sel_hi:[1,0,1]
	s_delay_alu instid0(VALU_DEP_1) | instskip(SKIP_2) | instid1(VALU_DEP_3)
	v_pk_fma_f32 v[16:17], v[16:17], v[34:35], v[20:21] op_sel:[1,1,0] op_sel_hi:[0,1,1] neg_lo:[1,0,0]
	v_xor_b32_e32 v20, 0x80000000, v19
	v_mov_b32_e32 v21, v18
	v_pk_fma_f32 v[16:17], v[18:19], v[36:37], v[16:17] op_sel_hi:[1,0,1]
	v_mov_b32_e32 v18, v37
	s_delay_alu instid0(VALU_DEP_1)
	v_pk_fma_f32 v[16:17], v[20:21], v[18:19], v[16:17] op_sel_hi:[1,0,1]
	s_branch .LBB6_6
.LBB6_11:                               ;   in Loop: Header=BB6_4 Depth=1
	s_or_b32 exec_lo, exec_lo, s12
.LBB6_12:                               ;   in Loop: Header=BB6_4 Depth=1
	s_delay_alu instid0(SALU_CYCLE_1)
	s_or_b32 exec_lo, exec_lo, s11
	s_and_saveexec_b32 s11, s0
	s_cbranch_execz .LBB6_3
; %bb.13:                               ;   in Loop: Header=BB6_4 Depth=1
	v_mov_b32_e32 v18, v17
	s_delay_alu instid0(VALU_DEP_1) | instskip(NEXT) | instid1(VALU_DEP_1)
	v_pk_mul_f32 v[18:19], v[18:19], v[0:1] op_sel_hi:[0,1]
	v_pk_fma_f32 v[16:17], v[2:3], v[16:17], v[18:19] op_sel_hi:[1,0,1]
	s_and_saveexec_b32 s12, s3
	s_delay_alu instid0(SALU_CYCLE_1)
	s_xor_b32 s12, exec_lo, s12
	s_cbranch_execz .LBB6_18
; %bb.14:                               ;   in Loop: Header=BB6_4 Depth=1
	s_and_b32 vcc_lo, exec_lo, s10
	s_mov_b32 s13, -1
	s_cbranch_vccz .LBB6_16
; %bb.15:                               ;   in Loop: Header=BB6_4 Depth=1
	global_load_b64 v[18:19], v[10:11], off
	s_mov_b32 s13, 0
	s_wait_loadcnt 0x0
	v_pk_fma_f32 v[20:21], v[4:5], v[18:19], v[16:17] op_sel_hi:[1,0,1]
	s_delay_alu instid0(VALU_DEP_1)
	v_pk_fma_f32 v[18:19], v[8:9], v[18:19], v[20:21] op_sel:[0,1,0]
	global_store_b64 v[10:11], v[18:19], off
.LBB6_16:                               ;   in Loop: Header=BB6_4 Depth=1
	s_and_not1_b32 vcc_lo, exec_lo, s13
	s_cbranch_vccnz .LBB6_18
; %bb.17:                               ;   in Loop: Header=BB6_4 Depth=1
	global_load_b64 v[18:19], v[14:15], off
	s_wait_loadcnt 0x0
	v_pk_fma_f32 v[16:17], v[4:5], v[18:19], v[16:17] op_sel_hi:[1,0,1]
	s_delay_alu instid0(VALU_DEP_1)
	v_pk_fma_f32 v[16:17], v[8:9], v[18:19], v[16:17] op_sel:[0,1,0]
	global_store_b64 v[14:15], v[16:17], off
                                        ; implicit-def: $vgpr16_vgpr17
.LBB6_18:                               ;   in Loop: Header=BB6_4 Depth=1
	s_wait_xcnt 0x0
	s_and_not1_saveexec_b32 s12, s12
	s_cbranch_execz .LBB6_3
; %bb.19:                               ;   in Loop: Header=BB6_4 Depth=1
	s_and_b32 vcc_lo, exec_lo, s10
	s_mov_b32 s12, -1
	s_cbranch_vccz .LBB6_21
; %bb.20:                               ;   in Loop: Header=BB6_4 Depth=1
	s_mov_b32 s12, 0
	global_store_b64 v[10:11], v[16:17], off
.LBB6_21:                               ;   in Loop: Header=BB6_4 Depth=1
	s_and_not1_b32 vcc_lo, exec_lo, s12
	s_cbranch_vccnz .LBB6_3
; %bb.22:                               ;   in Loop: Header=BB6_4 Depth=1
	global_store_b64 v[14:15], v[16:17], off
	s_branch .LBB6_3
.LBB6_23:
	s_endpgm
	.section	.rodata,"a",@progbits
	.p2align	6, 0x0
	.amdhsa_kernel _ZN9rocsparseL29bsrmmnn_small_blockdim_kernelILj64ELj8ELj2Eii21rocsparse_complex_numIfES2_S2_S2_EEv20rocsparse_direction_T3_S4_llNS_24const_host_device_scalarIT7_EEPKT2_PKS4_PKT4_PKT5_llS7_PT6_ll16rocsparse_order_21rocsparse_index_base_b
		.amdhsa_group_segment_fixed_size 1792
		.amdhsa_private_segment_fixed_size 0
		.amdhsa_kernarg_size 392
		.amdhsa_user_sgpr_count 2
		.amdhsa_user_sgpr_dispatch_ptr 0
		.amdhsa_user_sgpr_queue_ptr 0
		.amdhsa_user_sgpr_kernarg_segment_ptr 1
		.amdhsa_user_sgpr_dispatch_id 0
		.amdhsa_user_sgpr_kernarg_preload_length 0
		.amdhsa_user_sgpr_kernarg_preload_offset 0
		.amdhsa_user_sgpr_private_segment_size 0
		.amdhsa_wavefront_size32 1
		.amdhsa_uses_dynamic_stack 0
		.amdhsa_enable_private_segment 0
		.amdhsa_system_sgpr_workgroup_id_x 1
		.amdhsa_system_sgpr_workgroup_id_y 1
		.amdhsa_system_sgpr_workgroup_id_z 0
		.amdhsa_system_sgpr_workgroup_info 0
		.amdhsa_system_vgpr_workitem_id 0
		.amdhsa_next_free_vgpr 56
		.amdhsa_next_free_sgpr 23
		.amdhsa_named_barrier_count 0
		.amdhsa_reserve_vcc 1
		.amdhsa_float_round_mode_32 0
		.amdhsa_float_round_mode_16_64 0
		.amdhsa_float_denorm_mode_32 3
		.amdhsa_float_denorm_mode_16_64 3
		.amdhsa_fp16_overflow 0
		.amdhsa_memory_ordered 1
		.amdhsa_forward_progress 1
		.amdhsa_inst_pref_size 16
		.amdhsa_round_robin_scheduling 0
		.amdhsa_exception_fp_ieee_invalid_op 0
		.amdhsa_exception_fp_denorm_src 0
		.amdhsa_exception_fp_ieee_div_zero 0
		.amdhsa_exception_fp_ieee_overflow 0
		.amdhsa_exception_fp_ieee_underflow 0
		.amdhsa_exception_fp_ieee_inexact 0
		.amdhsa_exception_int_div_zero 0
	.end_amdhsa_kernel
	.section	.text._ZN9rocsparseL29bsrmmnn_small_blockdim_kernelILj64ELj8ELj2Eii21rocsparse_complex_numIfES2_S2_S2_EEv20rocsparse_direction_T3_S4_llNS_24const_host_device_scalarIT7_EEPKT2_PKS4_PKT4_PKT5_llS7_PT6_ll16rocsparse_order_21rocsparse_index_base_b,"axG",@progbits,_ZN9rocsparseL29bsrmmnn_small_blockdim_kernelILj64ELj8ELj2Eii21rocsparse_complex_numIfES2_S2_S2_EEv20rocsparse_direction_T3_S4_llNS_24const_host_device_scalarIT7_EEPKT2_PKS4_PKT4_PKT5_llS7_PT6_ll16rocsparse_order_21rocsparse_index_base_b,comdat
.Lfunc_end6:
	.size	_ZN9rocsparseL29bsrmmnn_small_blockdim_kernelILj64ELj8ELj2Eii21rocsparse_complex_numIfES2_S2_S2_EEv20rocsparse_direction_T3_S4_llNS_24const_host_device_scalarIT7_EEPKT2_PKS4_PKT4_PKT5_llS7_PT6_ll16rocsparse_order_21rocsparse_index_base_b, .Lfunc_end6-_ZN9rocsparseL29bsrmmnn_small_blockdim_kernelILj64ELj8ELj2Eii21rocsparse_complex_numIfES2_S2_S2_EEv20rocsparse_direction_T3_S4_llNS_24const_host_device_scalarIT7_EEPKT2_PKS4_PKT4_PKT5_llS7_PT6_ll16rocsparse_order_21rocsparse_index_base_b
                                        ; -- End function
	.set _ZN9rocsparseL29bsrmmnn_small_blockdim_kernelILj64ELj8ELj2Eii21rocsparse_complex_numIfES2_S2_S2_EEv20rocsparse_direction_T3_S4_llNS_24const_host_device_scalarIT7_EEPKT2_PKS4_PKT4_PKT5_llS7_PT6_ll16rocsparse_order_21rocsparse_index_base_b.num_vgpr, 56
	.set _ZN9rocsparseL29bsrmmnn_small_blockdim_kernelILj64ELj8ELj2Eii21rocsparse_complex_numIfES2_S2_S2_EEv20rocsparse_direction_T3_S4_llNS_24const_host_device_scalarIT7_EEPKT2_PKS4_PKT4_PKT5_llS7_PT6_ll16rocsparse_order_21rocsparse_index_base_b.num_agpr, 0
	.set _ZN9rocsparseL29bsrmmnn_small_blockdim_kernelILj64ELj8ELj2Eii21rocsparse_complex_numIfES2_S2_S2_EEv20rocsparse_direction_T3_S4_llNS_24const_host_device_scalarIT7_EEPKT2_PKS4_PKT4_PKT5_llS7_PT6_ll16rocsparse_order_21rocsparse_index_base_b.numbered_sgpr, 23
	.set _ZN9rocsparseL29bsrmmnn_small_blockdim_kernelILj64ELj8ELj2Eii21rocsparse_complex_numIfES2_S2_S2_EEv20rocsparse_direction_T3_S4_llNS_24const_host_device_scalarIT7_EEPKT2_PKS4_PKT4_PKT5_llS7_PT6_ll16rocsparse_order_21rocsparse_index_base_b.num_named_barrier, 0
	.set _ZN9rocsparseL29bsrmmnn_small_blockdim_kernelILj64ELj8ELj2Eii21rocsparse_complex_numIfES2_S2_S2_EEv20rocsparse_direction_T3_S4_llNS_24const_host_device_scalarIT7_EEPKT2_PKS4_PKT4_PKT5_llS7_PT6_ll16rocsparse_order_21rocsparse_index_base_b.private_seg_size, 0
	.set _ZN9rocsparseL29bsrmmnn_small_blockdim_kernelILj64ELj8ELj2Eii21rocsparse_complex_numIfES2_S2_S2_EEv20rocsparse_direction_T3_S4_llNS_24const_host_device_scalarIT7_EEPKT2_PKS4_PKT4_PKT5_llS7_PT6_ll16rocsparse_order_21rocsparse_index_base_b.uses_vcc, 1
	.set _ZN9rocsparseL29bsrmmnn_small_blockdim_kernelILj64ELj8ELj2Eii21rocsparse_complex_numIfES2_S2_S2_EEv20rocsparse_direction_T3_S4_llNS_24const_host_device_scalarIT7_EEPKT2_PKS4_PKT4_PKT5_llS7_PT6_ll16rocsparse_order_21rocsparse_index_base_b.uses_flat_scratch, 1
	.set _ZN9rocsparseL29bsrmmnn_small_blockdim_kernelILj64ELj8ELj2Eii21rocsparse_complex_numIfES2_S2_S2_EEv20rocsparse_direction_T3_S4_llNS_24const_host_device_scalarIT7_EEPKT2_PKS4_PKT4_PKT5_llS7_PT6_ll16rocsparse_order_21rocsparse_index_base_b.has_dyn_sized_stack, 0
	.set _ZN9rocsparseL29bsrmmnn_small_blockdim_kernelILj64ELj8ELj2Eii21rocsparse_complex_numIfES2_S2_S2_EEv20rocsparse_direction_T3_S4_llNS_24const_host_device_scalarIT7_EEPKT2_PKS4_PKT4_PKT5_llS7_PT6_ll16rocsparse_order_21rocsparse_index_base_b.has_recursion, 0
	.set _ZN9rocsparseL29bsrmmnn_small_blockdim_kernelILj64ELj8ELj2Eii21rocsparse_complex_numIfES2_S2_S2_EEv20rocsparse_direction_T3_S4_llNS_24const_host_device_scalarIT7_EEPKT2_PKS4_PKT4_PKT5_llS7_PT6_ll16rocsparse_order_21rocsparse_index_base_b.has_indirect_call, 0
	.section	.AMDGPU.csdata,"",@progbits
; Kernel info:
; codeLenInByte = 2028
; TotalNumSgprs: 25
; NumVgprs: 56
; ScratchSize: 0
; MemoryBound: 0
; FloatMode: 240
; IeeeMode: 1
; LDSByteSize: 1792 bytes/workgroup (compile time only)
; SGPRBlocks: 0
; VGPRBlocks: 3
; NumSGPRsForWavesPerEU: 25
; NumVGPRsForWavesPerEU: 56
; NamedBarCnt: 0
; Occupancy: 16
; WaveLimiterHint : 0
; COMPUTE_PGM_RSRC2:SCRATCH_EN: 0
; COMPUTE_PGM_RSRC2:USER_SGPR: 2
; COMPUTE_PGM_RSRC2:TRAP_HANDLER: 0
; COMPUTE_PGM_RSRC2:TGID_X_EN: 1
; COMPUTE_PGM_RSRC2:TGID_Y_EN: 1
; COMPUTE_PGM_RSRC2:TGID_Z_EN: 0
; COMPUTE_PGM_RSRC2:TIDIG_COMP_CNT: 0
	.section	.text._ZN9rocsparseL29bsrmmnn_small_blockdim_kernelILj64ELj8ELj2Eli21rocsparse_complex_numIfES2_S2_S2_EEv20rocsparse_direction_T3_S4_llNS_24const_host_device_scalarIT7_EEPKT2_PKS4_PKT4_PKT5_llS7_PT6_ll16rocsparse_order_21rocsparse_index_base_b,"axG",@progbits,_ZN9rocsparseL29bsrmmnn_small_blockdim_kernelILj64ELj8ELj2Eli21rocsparse_complex_numIfES2_S2_S2_EEv20rocsparse_direction_T3_S4_llNS_24const_host_device_scalarIT7_EEPKT2_PKS4_PKT4_PKT5_llS7_PT6_ll16rocsparse_order_21rocsparse_index_base_b,comdat
	.globl	_ZN9rocsparseL29bsrmmnn_small_blockdim_kernelILj64ELj8ELj2Eli21rocsparse_complex_numIfES2_S2_S2_EEv20rocsparse_direction_T3_S4_llNS_24const_host_device_scalarIT7_EEPKT2_PKS4_PKT4_PKT5_llS7_PT6_ll16rocsparse_order_21rocsparse_index_base_b ; -- Begin function _ZN9rocsparseL29bsrmmnn_small_blockdim_kernelILj64ELj8ELj2Eli21rocsparse_complex_numIfES2_S2_S2_EEv20rocsparse_direction_T3_S4_llNS_24const_host_device_scalarIT7_EEPKT2_PKS4_PKT4_PKT5_llS7_PT6_ll16rocsparse_order_21rocsparse_index_base_b
	.p2align	8
	.type	_ZN9rocsparseL29bsrmmnn_small_blockdim_kernelILj64ELj8ELj2Eli21rocsparse_complex_numIfES2_S2_S2_EEv20rocsparse_direction_T3_S4_llNS_24const_host_device_scalarIT7_EEPKT2_PKS4_PKT4_PKT5_llS7_PT6_ll16rocsparse_order_21rocsparse_index_base_b,@function
_ZN9rocsparseL29bsrmmnn_small_blockdim_kernelILj64ELj8ELj2Eli21rocsparse_complex_numIfES2_S2_S2_EEv20rocsparse_direction_T3_S4_llNS_24const_host_device_scalarIT7_EEPKT2_PKS4_PKT4_PKT5_llS7_PT6_ll16rocsparse_order_21rocsparse_index_base_b: ; @_ZN9rocsparseL29bsrmmnn_small_blockdim_kernelILj64ELj8ELj2Eli21rocsparse_complex_numIfES2_S2_S2_EEv20rocsparse_direction_T3_S4_llNS_24const_host_device_scalarIT7_EEPKT2_PKS4_PKT4_PKT5_llS7_PT6_ll16rocsparse_order_21rocsparse_index_base_b
; %bb.0:
	s_clause 0x2
	s_load_b96 s[16:18], s[0:1], 0x78
	s_load_b64 s[2:3], s[0:1], 0x20
	s_load_b64 s[4:5], s[0:1], 0x58
	v_mov_b32_e32 v1, 0
	s_add_nc_u64 s[6:7], s[0:1], 32
	s_add_nc_u64 s[8:9], s[0:1], 0x58
	s_wait_kmcnt 0x0
	s_bitcmp1_b32 s18, 0
	s_cselect_b32 s3, s7, s3
	s_cselect_b32 s2, s6, s2
	s_cselect_b32 s5, s9, s5
	s_cselect_b32 s4, s8, s4
	s_clause 0x1
	flat_load_b64 v[4:5], v1, s[2:3]
	flat_load_b64 v[6:7], v1, s[4:5]
	s_wait_loadcnt_dscnt 0x101
	s_wait_xcnt 0x1
	v_cmp_eq_f32_e64 s2, 0, v4
	v_cmp_eq_f32_e64 s3, 0, v5
	s_wait_loadcnt_dscnt 0x0
	v_cmp_eq_f32_e64 s4, 1.0, v6
	v_cmp_eq_f32_e32 vcc_lo, 0, v7
	s_and_b32 s2, s2, s3
	s_and_b32 s3, s4, vcc_lo
	s_delay_alu instid0(SALU_CYCLE_1) | instskip(SKIP_2) | instid1(SALU_CYCLE_1)
	s_and_b32 s2, s2, s3
	s_mov_b32 s3, 0
	s_xor_b32 s2, s2, -1
	s_and_saveexec_b32 s4, s2
	s_cbranch_execz .LBB7_23
; %bb.1:
	s_load_b32 s5, s[0:1], 0x88
	s_bfe_u32 s2, ttmp6, 0x4000c
	s_and_b32 s6, ttmp6, 15
	s_add_co_i32 s2, s2, 1
	s_getreg_b32 s4, hwreg(HW_REG_IB_STS2, 6, 4)
	s_mul_i32 s2, ttmp9, s2
	s_delay_alu instid0(SALU_CYCLE_1)
	s_add_co_i32 s6, s6, s2
	s_cmp_eq_u32 s4, 0
	s_cselect_b32 s8, ttmp9, s6
	s_add_nc_u64 s[6:7], s[0:1], 0x88
	s_wait_kmcnt 0x0
	s_cmp_lt_u32 s8, s5
	s_cselect_b32 s2, 12, 18
	s_delay_alu instid0(SALU_CYCLE_1) | instskip(SKIP_4) | instid1(VALU_DEP_1)
	s_add_nc_u64 s[6:7], s[6:7], s[2:3]
	s_load_u16 s3, s[6:7], 0x0
	s_load_b96 s[20:22], s[0:1], 0x0
	s_wait_kmcnt 0x0
	v_mad_u32 v1, s8, s3, v0
	v_lshrrev_b32_e32 v8, 4, v1
	s_delay_alu instid0(VALU_DEP_1)
	v_cmp_gt_i32_e64 s2, s21, v8
	s_and_b32 exec_lo, exec_lo, s2
	s_cbranch_execz .LBB7_23
; %bb.2:
	s_bfe_u32 s2, ttmp6, 0x40010
	s_clause 0x1
	s_load_b128 s[12:15], s[0:1], 0x60
	s_load_b64 s[24:25], s[0:1], 0x48
	s_add_co_i32 s2, s2, 1
	s_mul_i32 s5, s5, s3
	s_mul_i32 s2, ttmp7, s2
	s_bfe_u32 s3, ttmp6, 0x40004
	s_lshr_b32 s18, s5, 4
	v_dual_mov_b32 v9, 0 :: v_dual_bitop2_b32 v10, 7, v1 bitop3:0x40
	s_add_co_i32 s3, s3, s2
	s_cmp_eq_u32 s4, 0
	v_lshrrev_b32_e32 v16, 3, v0
	s_cselect_b32 s2, ttmp7, s3
	v_mov_b32_e32 v13, v9
	v_lshl_or_b32 v2, s2, 3, v10
	s_load_b256 s[4:11], s[0:1], 0x28
	v_lshrrev_b32_e32 v12, 3, v1
	s_wait_xcnt 0x0
	v_cmp_neq_f32_e64 s0, 0, v6
	s_xor_b32 s1, vcc_lo, -1
	v_ashrrev_i32_e32 v3, 31, v2
	v_bfe_u32 v15, v1, 3, 1
	s_wait_kmcnt 0x0
	v_mul_u64_e32 v[20:21], s[14:15], v[12:13]
	s_or_b32 s1, s0, s1
	s_cmp_lg_u32 s16, 1
	v_mul_u64_e32 v[18:19], s[14:15], v[2:3]
	v_mul_u64_e32 v[22:23], s[24:25], v[2:3]
	s_cselect_b32 s16, -1, 0
	s_cmp_eq_u32 s20, 0
	v_dual_mov_b32 v13, v4 :: v_dual_bitop2_b32 v0, -8, v1 bitop3:0x40
	s_cselect_b32 s14, -1, 0
	v_dual_mov_b32 v11, v9 :: v_dual_mov_b32 v1, v9
	v_cndmask_b32_e64 v24, 0, 1, s14
	v_mov_b32_e32 v25, v9
	v_cmp_gt_i32_e64 s0, s22, v2
	v_lshl_add_u64 v[2:3], v[2:3], 3, s[12:13]
	v_lshl_or_b32 v36, v16, 5, 0x600
	v_lshlrev_b32_e32 v15, v24, v15
	v_mul_u32_u24_e32 v37, 0xc0, v16
	v_mul_u32_u24_e32 v28, 24, v10
	s_mov_b32 s3, 0
	s_mov_b32 s2, s17
	v_dual_mov_b32 v15, v6 :: v_dual_lshlrev_b32 v24, 3, v15
	v_sub_nc_u64_e64 v[16:17], v[10:11], s[2:3]
	v_xor_b32_e32 v12, 0x80000000, v5
	v_xor_b32_e32 v14, 0x80000000, v7
	s_delay_alu instid0(VALU_DEP_4)
	v_add_nc_u64_e32 v[24:25], s[8:9], v[24:25]
	v_lshl_or_b32 v38, v10, 2, v36
	v_add_nc_u32_e32 v39, v37, v28
	s_and_b32 s14, s14, exec_lo
	s_mov_b32 s15, s3
	s_cselect_b32 s14, 8, 16
	s_cselect_b32 s8, 12, 20
	s_mov_b32 s9, s3
	v_lshl_add_u64 v[26:27], v[18:19], 3, s[12:13]
	v_lshl_add_u64 v[18:19], v[20:21], 3, v[2:3]
	;; [unrolled: 1-line block ×3, first 2 shown]
	s_mov_b32 s10, s3
	s_delay_alu instid0(VALU_DEP_3)
	v_add_nc_u64_e32 v[22:23], v[26:27], v[0:1]
	s_branch .LBB7_4
.LBB7_3:                                ;   in Loop: Header=BB7_4 Depth=1
	s_wait_xcnt 0x0
	s_or_b32 exec_lo, exec_lo, s11
	v_add_nc_u32_e32 v8, s18, v8
	s_delay_alu instid0(VALU_DEP_1) | instskip(SKIP_1) | instid1(SALU_CYCLE_1)
	v_cmp_le_i32_e32 vcc_lo, s21, v8
	s_or_b32 s10, vcc_lo, s10
	s_and_not1_b32 exec_lo, exec_lo, s10
	s_cbranch_execz .LBB7_23
.LBB7_4:                                ; =>This Loop Header: Depth=1
                                        ;     Child Loop BB7_7 Depth 2
	v_lshl_add_u64 v[0:1], v[8:9], 3, s[4:5]
	v_dual_mov_b32 v31, 0 :: v_dual_mov_b32 v30, 0
	s_mov_b32 s11, exec_lo
	global_load_b128 v[0:3], v[0:1], off
	s_wait_loadcnt 0x0
	s_wait_xcnt 0x0
	v_cmpx_lt_i64_e64 v[0:1], v[2:3]
	s_cbranch_execz .LBB7_12
; %bb.5:                                ;   in Loop: Header=BB7_4 Depth=1
	v_add_nc_u64_e32 v[28:29], v[16:17], v[0:1]
	v_mov_b32_e32 v30, 0
	v_sub_nc_u64_e64 v[2:3], v[2:3], s[2:3]
	v_sub_nc_u64_e64 v[0:1], v[0:1], s[2:3]
	s_mov_b32 s12, 0
	s_delay_alu instid0(VALU_DEP_3) | instskip(SKIP_2) | instid1(VALU_DEP_2)
	v_mov_b32_e32 v31, v30
	v_lshlrev_b64_e32 v[26:27], 5, v[28:29]
	v_lshl_add_u64 v[28:29], v[28:29], 2, s[6:7]
	v_add_nc_u64_e32 v[26:27], v[24:25], v[26:27]
	s_branch .LBB7_7
.LBB7_6:                                ;   in Loop: Header=BB7_7 Depth=2
	s_or_b32 exec_lo, exec_lo, s13
	v_add_nc_u64_e32 v[0:1], 8, v[0:1]
	v_add_nc_u64_e32 v[28:29], 32, v[28:29]
	;; [unrolled: 1-line block ×3, first 2 shown]
	s_delay_alu instid0(VALU_DEP_3) | instskip(SKIP_1) | instid1(SALU_CYCLE_1)
	v_cmp_ge_i64_e32 vcc_lo, v[0:1], v[2:3]
	s_or_b32 s12, vcc_lo, s12
	s_and_not1_b32 exec_lo, exec_lo, s12
	s_cbranch_execz .LBB7_11
.LBB7_7:                                ;   Parent Loop BB7_4 Depth=1
                                        ; =>  This Inner Loop Header: Depth=2
	v_add_nc_u64_e32 v[34:35], v[10:11], v[0:1]
	v_dual_mov_b32 v40, 0 :: v_dual_mov_b32 v32, 0
	v_mov_b32_e32 v33, 0
	s_delay_alu instid0(VALU_DEP_3)
	v_cmp_lt_i64_e32 vcc_lo, v[34:35], v[2:3]
	v_dual_mov_b32 v34, 0 :: v_dual_mov_b32 v35, 0
	s_and_saveexec_b32 s13, vcc_lo
	s_cbranch_execz .LBB7_9
; %bb.8:                                ;   in Loop: Header=BB7_7 Depth=2
	global_load_b32 v44, v[28:29], off
	v_add_nc_u64_e32 v[40:41], s[14:15], v[26:27]
	v_add_nc_u64_e32 v[42:43], s[8:9], v[26:27]
	s_clause 0x2
	global_load_b64 v[32:33], v[26:27], off
	global_load_b32 v34, v[40:41], off
	global_load_b32 v35, v[42:43], off
	s_wait_loadcnt 0x3
	s_wait_xcnt 0x1
	v_subrev_nc_u32_e32 v40, s17, v44
	s_delay_alu instid0(VALU_DEP_1)
	v_lshlrev_b32_e32 v40, 1, v40
.LBB7_9:                                ;   in Loop: Header=BB7_7 Depth=2
	s_wait_xcnt 0x0
	s_or_b32 exec_lo, exec_lo, s13
	ds_store_b32 v38, v40
	s_wait_loadcnt 0x0
	ds_store_2addr_b64 v39, v[32:33], v[34:35] offset1:1
	s_wait_dscnt 0x0
	s_barrier_signal -1
	s_barrier_wait -1
	s_and_saveexec_b32 s13, s0
	s_cbranch_execz .LBB7_6
; %bb.10:                               ;   in Loop: Header=BB7_7 Depth=2
	ds_load_b128 v[32:35], v36
	ds_load_b128 v[40:43], v36 offset:16
	s_wait_dscnt 0x1
	v_dual_mov_b32 v44, v32 :: v_dual_ashrrev_i32 v45, 31, v32
	v_dual_mov_b32 v48, v33 :: v_dual_ashrrev_i32 v49, 31, v33
	s_delay_alu instid0(VALU_DEP_2) | instskip(NEXT) | instid1(VALU_DEP_2)
	v_lshl_add_u64 v[44:45], v[44:45], 3, v[20:21]
	v_lshl_add_u64 v[32:33], v[48:49], 3, v[20:21]
	s_clause 0x1
	global_load_b128 v[44:47], v[44:45], off
	global_load_b128 v[48:51], v[32:33], off
	ds_load_b128 v[52:55], v37
	ds_load_b128 v[56:59], v37 offset:48
	s_wait_dscnt 0x1
	s_wait_xcnt 0x0
	v_xor_b32_e32 v32, 0x80000000, v55
	v_mov_b32_e32 v33, v54
	s_wait_dscnt 0x0
	v_xor_b32_e32 v60, 0x80000000, v59
	s_wait_loadcnt 0x1
	v_pk_fma_f32 v[30:31], v[52:53], v[44:45], v[30:31] op_sel_hi:[1,0,1]
	s_delay_alu instid0(VALU_DEP_1) | instskip(SKIP_1) | instid1(VALU_DEP_2)
	v_pk_fma_f32 v[30:31], v[52:53], v[44:45], v[30:31] op_sel:[1,1,0] op_sel_hi:[0,1,1] neg_lo:[1,0,0]
	v_mov_b32_e32 v44, v47
	v_pk_fma_f32 v[30:31], v[54:55], v[46:47], v[30:31] op_sel_hi:[1,0,1]
	s_delay_alu instid0(VALU_DEP_1) | instskip(SKIP_3) | instid1(VALU_DEP_1)
	v_pk_fma_f32 v[44:45], v[32:33], v[44:45], v[30:31] op_sel_hi:[1,0,1]
	ds_load_2addr_b64 v[30:33], v37 offset0:3 offset1:4
	s_wait_loadcnt_dscnt 0x0
	v_pk_fma_f32 v[44:45], v[30:31], v[48:49], v[44:45] op_sel_hi:[1,0,1]
	v_pk_fma_f32 v[30:31], v[30:31], v[48:49], v[44:45] op_sel:[1,1,0] op_sel_hi:[0,1,1] neg_lo:[1,0,0]
	v_xor_b32_e32 v44, 0x80000000, v33
	v_mov_b32_e32 v45, v32
	s_delay_alu instid0(VALU_DEP_3) | instskip(SKIP_1) | instid1(VALU_DEP_1)
	v_pk_fma_f32 v[30:31], v[32:33], v[50:51], v[30:31] op_sel_hi:[1,0,1]
	v_mov_b32_e32 v32, v51
	v_pk_fma_f32 v[44:45], v[44:45], v[32:33], v[30:31] op_sel_hi:[1,0,1]
	v_dual_mov_b32 v30, v34 :: v_dual_ashrrev_i32 v31, 31, v34
	s_delay_alu instid0(VALU_DEP_1)
	v_lshl_add_u64 v[30:31], v[30:31], 3, v[20:21]
	global_load_b128 v[30:33], v[30:31], off
	v_mov_b32_e32 v61, v58
	s_wait_loadcnt 0x0
	v_pk_fma_f32 v[44:45], v[56:57], v[30:31], v[44:45] op_sel_hi:[1,0,1]
	s_wait_xcnt 0x0
	s_delay_alu instid0(VALU_DEP_1) | instskip(SKIP_1) | instid1(VALU_DEP_2)
	v_pk_fma_f32 v[30:31], v[56:57], v[30:31], v[44:45] op_sel:[1,1,0] op_sel_hi:[0,1,1] neg_lo:[1,0,0]
	v_dual_mov_b32 v44, v35 :: v_dual_ashrrev_i32 v45, 31, v35
	v_pk_fma_f32 v[30:31], v[58:59], v[32:33], v[30:31] op_sel_hi:[1,0,1]
	v_mov_b32_e32 v32, v33
	s_delay_alu instid0(VALU_DEP_3) | instskip(SKIP_3) | instid1(VALU_DEP_1)
	v_lshl_add_u64 v[34:35], v[44:45], 3, v[20:21]
	global_load_b128 v[44:47], v[34:35], off
	s_wait_xcnt 0x0
	v_dual_mov_b32 v34, v40 :: v_dual_ashrrev_i32 v35, 31, v40
	v_lshl_add_u64 v[34:35], v[34:35], 3, v[20:21]
	global_load_b128 v[48:51], v[34:35], off
	s_wait_xcnt 0x0
	v_dual_mov_b32 v34, v41 :: v_dual_ashrrev_i32 v35, 31, v41
	s_delay_alu instid0(VALU_DEP_1)
	v_lshl_add_u64 v[34:35], v[34:35], 3, v[20:21]
	global_load_b128 v[52:55], v[34:35], off
	s_wait_xcnt 0x0
	v_pk_fma_f32 v[34:35], v[60:61], v[32:33], v[30:31] op_sel_hi:[1,0,1]
	ds_load_2addr_b64 v[30:33], v37 offset0:9 offset1:10
	s_wait_loadcnt_dscnt 0x200
	v_pk_fma_f32 v[34:35], v[30:31], v[44:45], v[34:35] op_sel_hi:[1,0,1]
	s_delay_alu instid0(VALU_DEP_1) | instskip(SKIP_2) | instid1(VALU_DEP_3)
	v_pk_fma_f32 v[30:31], v[30:31], v[44:45], v[34:35] op_sel:[1,1,0] op_sel_hi:[0,1,1] neg_lo:[1,0,0]
	v_xor_b32_e32 v34, 0x80000000, v33
	v_mov_b32_e32 v35, v32
	v_pk_fma_f32 v[30:31], v[32:33], v[46:47], v[30:31] op_sel_hi:[1,0,1]
	v_mov_b32_e32 v32, v47
	s_delay_alu instid0(VALU_DEP_1) | instskip(SKIP_3) | instid1(VALU_DEP_1)
	v_pk_fma_f32 v[34:35], v[34:35], v[32:33], v[30:31] op_sel_hi:[1,0,1]
	ds_load_b128 v[30:33], v37 offset:96
	s_wait_loadcnt_dscnt 0x100
	v_pk_fma_f32 v[34:35], v[30:31], v[48:49], v[34:35] op_sel_hi:[1,0,1]
	v_pk_fma_f32 v[30:31], v[30:31], v[48:49], v[34:35] op_sel:[1,1,0] op_sel_hi:[0,1,1] neg_lo:[1,0,0]
	v_xor_b32_e32 v34, 0x80000000, v33
	v_mov_b32_e32 v35, v32
	s_delay_alu instid0(VALU_DEP_3) | instskip(SKIP_1) | instid1(VALU_DEP_1)
	v_pk_fma_f32 v[30:31], v[32:33], v[50:51], v[30:31] op_sel_hi:[1,0,1]
	v_mov_b32_e32 v32, v51
	v_pk_fma_f32 v[34:35], v[34:35], v[32:33], v[30:31] op_sel_hi:[1,0,1]
	ds_load_2addr_b64 v[30:33], v37 offset0:15 offset1:16
	s_wait_loadcnt_dscnt 0x0
	v_pk_fma_f32 v[34:35], v[30:31], v[52:53], v[34:35] op_sel_hi:[1,0,1]
	s_delay_alu instid0(VALU_DEP_1) | instskip(SKIP_1) | instid1(VALU_DEP_2)
	v_pk_fma_f32 v[30:31], v[30:31], v[52:53], v[34:35] op_sel:[1,1,0] op_sel_hi:[0,1,1] neg_lo:[1,0,0]
	v_dual_mov_b32 v34, v42 :: v_dual_ashrrev_i32 v35, 31, v42
	v_pk_fma_f32 v[30:31], v[32:33], v[54:55], v[30:31] op_sel_hi:[1,0,1]
	s_delay_alu instid0(VALU_DEP_2) | instskip(SKIP_3) | instid1(VALU_DEP_1)
	v_lshl_add_u64 v[34:35], v[34:35], 3, v[20:21]
	global_load_b128 v[44:47], v[34:35], off
	s_wait_xcnt 0x0
	v_dual_mov_b32 v34, v43 :: v_dual_ashrrev_i32 v35, 31, v43
	v_lshl_add_u64 v[34:35], v[34:35], 3, v[20:21]
	global_load_b128 v[40:43], v[34:35], off
	s_wait_xcnt 0x0
	v_xor_b32_e32 v34, 0x80000000, v33
	v_dual_mov_b32 v35, v32 :: v_dual_mov_b32 v32, v55
	s_delay_alu instid0(VALU_DEP_1) | instskip(SKIP_3) | instid1(VALU_DEP_1)
	v_pk_fma_f32 v[34:35], v[34:35], v[32:33], v[30:31] op_sel_hi:[1,0,1]
	ds_load_b128 v[30:33], v37 offset:144
	s_wait_loadcnt_dscnt 0x100
	v_pk_fma_f32 v[34:35], v[30:31], v[44:45], v[34:35] op_sel_hi:[1,0,1]
	v_pk_fma_f32 v[30:31], v[30:31], v[44:45], v[34:35] op_sel:[1,1,0] op_sel_hi:[0,1,1] neg_lo:[1,0,0]
	v_xor_b32_e32 v34, 0x80000000, v33
	v_mov_b32_e32 v35, v32
	s_delay_alu instid0(VALU_DEP_3) | instskip(SKIP_1) | instid1(VALU_DEP_1)
	v_pk_fma_f32 v[30:31], v[32:33], v[46:47], v[30:31] op_sel_hi:[1,0,1]
	v_mov_b32_e32 v32, v47
	v_pk_fma_f32 v[34:35], v[34:35], v[32:33], v[30:31] op_sel_hi:[1,0,1]
	ds_load_2addr_b64 v[30:33], v37 offset0:21 offset1:22
	s_wait_loadcnt_dscnt 0x0
	v_pk_fma_f32 v[34:35], v[30:31], v[40:41], v[34:35] op_sel_hi:[1,0,1]
	s_delay_alu instid0(VALU_DEP_1) | instskip(SKIP_2) | instid1(VALU_DEP_3)
	v_pk_fma_f32 v[30:31], v[30:31], v[40:41], v[34:35] op_sel:[1,1,0] op_sel_hi:[0,1,1] neg_lo:[1,0,0]
	v_xor_b32_e32 v34, 0x80000000, v33
	v_mov_b32_e32 v35, v32
	v_pk_fma_f32 v[30:31], v[32:33], v[42:43], v[30:31] op_sel_hi:[1,0,1]
	v_mov_b32_e32 v32, v43
	s_delay_alu instid0(VALU_DEP_1)
	v_pk_fma_f32 v[30:31], v[34:35], v[32:33], v[30:31] op_sel_hi:[1,0,1]
	s_branch .LBB7_6
.LBB7_11:                               ;   in Loop: Header=BB7_4 Depth=1
	s_or_b32 exec_lo, exec_lo, s12
.LBB7_12:                               ;   in Loop: Header=BB7_4 Depth=1
	s_delay_alu instid0(SALU_CYCLE_1)
	s_or_b32 exec_lo, exec_lo, s11
	s_and_saveexec_b32 s11, s0
	s_cbranch_execz .LBB7_3
; %bb.13:                               ;   in Loop: Header=BB7_4 Depth=1
	v_mov_b32_e32 v0, v31
	s_delay_alu instid0(VALU_DEP_1) | instskip(NEXT) | instid1(VALU_DEP_1)
	v_pk_mul_f32 v[0:1], v[0:1], v[12:13] op_sel_hi:[0,1]
	v_pk_fma_f32 v[0:1], v[4:5], v[30:31], v[0:1] op_sel_hi:[1,0,1]
	s_and_saveexec_b32 s12, s1
	s_delay_alu instid0(SALU_CYCLE_1)
	s_xor_b32 s12, exec_lo, s12
	s_cbranch_execz .LBB7_18
; %bb.14:                               ;   in Loop: Header=BB7_4 Depth=1
	s_and_b32 vcc_lo, exec_lo, s16
	s_mov_b32 s13, -1
	s_cbranch_vccz .LBB7_16
; %bb.15:                               ;   in Loop: Header=BB7_4 Depth=1
	global_load_b64 v[2:3], v[18:19], off
	s_mov_b32 s13, 0
	s_wait_loadcnt 0x0
	v_pk_fma_f32 v[26:27], v[6:7], v[2:3], v[0:1] op_sel_hi:[1,0,1]
	s_delay_alu instid0(VALU_DEP_1)
	v_pk_fma_f32 v[2:3], v[14:15], v[2:3], v[26:27] op_sel:[0,1,0]
	global_store_b64 v[18:19], v[2:3], off
.LBB7_16:                               ;   in Loop: Header=BB7_4 Depth=1
	s_and_not1_b32 vcc_lo, exec_lo, s13
	s_cbranch_vccnz .LBB7_18
; %bb.17:                               ;   in Loop: Header=BB7_4 Depth=1
	global_load_b64 v[2:3], v[22:23], off
	s_wait_loadcnt 0x0
	v_pk_fma_f32 v[0:1], v[6:7], v[2:3], v[0:1] op_sel_hi:[1,0,1]
	s_delay_alu instid0(VALU_DEP_1)
	v_pk_fma_f32 v[0:1], v[14:15], v[2:3], v[0:1] op_sel:[0,1,0]
	global_store_b64 v[22:23], v[0:1], off
                                        ; implicit-def: $vgpr0_vgpr1
.LBB7_18:                               ;   in Loop: Header=BB7_4 Depth=1
	s_wait_xcnt 0x0
	s_and_not1_saveexec_b32 s12, s12
	s_cbranch_execz .LBB7_3
; %bb.19:                               ;   in Loop: Header=BB7_4 Depth=1
	s_and_b32 vcc_lo, exec_lo, s16
	s_mov_b32 s12, -1
	s_cbranch_vccz .LBB7_21
; %bb.20:                               ;   in Loop: Header=BB7_4 Depth=1
	s_mov_b32 s12, 0
	global_store_b64 v[18:19], v[0:1], off
.LBB7_21:                               ;   in Loop: Header=BB7_4 Depth=1
	s_and_not1_b32 vcc_lo, exec_lo, s12
	s_cbranch_vccnz .LBB7_3
; %bb.22:                               ;   in Loop: Header=BB7_4 Depth=1
	global_store_b64 v[22:23], v[0:1], off
	s_branch .LBB7_3
.LBB7_23:
	s_endpgm
	.section	.rodata,"a",@progbits
	.p2align	6, 0x0
	.amdhsa_kernel _ZN9rocsparseL29bsrmmnn_small_blockdim_kernelILj64ELj8ELj2Eli21rocsparse_complex_numIfES2_S2_S2_EEv20rocsparse_direction_T3_S4_llNS_24const_host_device_scalarIT7_EEPKT2_PKS4_PKT4_PKT5_llS7_PT6_ll16rocsparse_order_21rocsparse_index_base_b
		.amdhsa_group_segment_fixed_size 1792
		.amdhsa_private_segment_fixed_size 0
		.amdhsa_kernarg_size 392
		.amdhsa_user_sgpr_count 2
		.amdhsa_user_sgpr_dispatch_ptr 0
		.amdhsa_user_sgpr_queue_ptr 0
		.amdhsa_user_sgpr_kernarg_segment_ptr 1
		.amdhsa_user_sgpr_dispatch_id 0
		.amdhsa_user_sgpr_kernarg_preload_length 0
		.amdhsa_user_sgpr_kernarg_preload_offset 0
		.amdhsa_user_sgpr_private_segment_size 0
		.amdhsa_wavefront_size32 1
		.amdhsa_uses_dynamic_stack 0
		.amdhsa_enable_private_segment 0
		.amdhsa_system_sgpr_workgroup_id_x 1
		.amdhsa_system_sgpr_workgroup_id_y 1
		.amdhsa_system_sgpr_workgroup_id_z 0
		.amdhsa_system_sgpr_workgroup_info 0
		.amdhsa_system_vgpr_workitem_id 0
		.amdhsa_next_free_vgpr 62
		.amdhsa_next_free_sgpr 26
		.amdhsa_named_barrier_count 0
		.amdhsa_reserve_vcc 1
		.amdhsa_float_round_mode_32 0
		.amdhsa_float_round_mode_16_64 0
		.amdhsa_float_denorm_mode_32 3
		.amdhsa_float_denorm_mode_16_64 3
		.amdhsa_fp16_overflow 0
		.amdhsa_memory_ordered 1
		.amdhsa_forward_progress 1
		.amdhsa_inst_pref_size 17
		.amdhsa_round_robin_scheduling 0
		.amdhsa_exception_fp_ieee_invalid_op 0
		.amdhsa_exception_fp_denorm_src 0
		.amdhsa_exception_fp_ieee_div_zero 0
		.amdhsa_exception_fp_ieee_overflow 0
		.amdhsa_exception_fp_ieee_underflow 0
		.amdhsa_exception_fp_ieee_inexact 0
		.amdhsa_exception_int_div_zero 0
	.end_amdhsa_kernel
	.section	.text._ZN9rocsparseL29bsrmmnn_small_blockdim_kernelILj64ELj8ELj2Eli21rocsparse_complex_numIfES2_S2_S2_EEv20rocsparse_direction_T3_S4_llNS_24const_host_device_scalarIT7_EEPKT2_PKS4_PKT4_PKT5_llS7_PT6_ll16rocsparse_order_21rocsparse_index_base_b,"axG",@progbits,_ZN9rocsparseL29bsrmmnn_small_blockdim_kernelILj64ELj8ELj2Eli21rocsparse_complex_numIfES2_S2_S2_EEv20rocsparse_direction_T3_S4_llNS_24const_host_device_scalarIT7_EEPKT2_PKS4_PKT4_PKT5_llS7_PT6_ll16rocsparse_order_21rocsparse_index_base_b,comdat
.Lfunc_end7:
	.size	_ZN9rocsparseL29bsrmmnn_small_blockdim_kernelILj64ELj8ELj2Eli21rocsparse_complex_numIfES2_S2_S2_EEv20rocsparse_direction_T3_S4_llNS_24const_host_device_scalarIT7_EEPKT2_PKS4_PKT4_PKT5_llS7_PT6_ll16rocsparse_order_21rocsparse_index_base_b, .Lfunc_end7-_ZN9rocsparseL29bsrmmnn_small_blockdim_kernelILj64ELj8ELj2Eli21rocsparse_complex_numIfES2_S2_S2_EEv20rocsparse_direction_T3_S4_llNS_24const_host_device_scalarIT7_EEPKT2_PKS4_PKT4_PKT5_llS7_PT6_ll16rocsparse_order_21rocsparse_index_base_b
                                        ; -- End function
	.set _ZN9rocsparseL29bsrmmnn_small_blockdim_kernelILj64ELj8ELj2Eli21rocsparse_complex_numIfES2_S2_S2_EEv20rocsparse_direction_T3_S4_llNS_24const_host_device_scalarIT7_EEPKT2_PKS4_PKT4_PKT5_llS7_PT6_ll16rocsparse_order_21rocsparse_index_base_b.num_vgpr, 62
	.set _ZN9rocsparseL29bsrmmnn_small_blockdim_kernelILj64ELj8ELj2Eli21rocsparse_complex_numIfES2_S2_S2_EEv20rocsparse_direction_T3_S4_llNS_24const_host_device_scalarIT7_EEPKT2_PKS4_PKT4_PKT5_llS7_PT6_ll16rocsparse_order_21rocsparse_index_base_b.num_agpr, 0
	.set _ZN9rocsparseL29bsrmmnn_small_blockdim_kernelILj64ELj8ELj2Eli21rocsparse_complex_numIfES2_S2_S2_EEv20rocsparse_direction_T3_S4_llNS_24const_host_device_scalarIT7_EEPKT2_PKS4_PKT4_PKT5_llS7_PT6_ll16rocsparse_order_21rocsparse_index_base_b.numbered_sgpr, 26
	.set _ZN9rocsparseL29bsrmmnn_small_blockdim_kernelILj64ELj8ELj2Eli21rocsparse_complex_numIfES2_S2_S2_EEv20rocsparse_direction_T3_S4_llNS_24const_host_device_scalarIT7_EEPKT2_PKS4_PKT4_PKT5_llS7_PT6_ll16rocsparse_order_21rocsparse_index_base_b.num_named_barrier, 0
	.set _ZN9rocsparseL29bsrmmnn_small_blockdim_kernelILj64ELj8ELj2Eli21rocsparse_complex_numIfES2_S2_S2_EEv20rocsparse_direction_T3_S4_llNS_24const_host_device_scalarIT7_EEPKT2_PKS4_PKT4_PKT5_llS7_PT6_ll16rocsparse_order_21rocsparse_index_base_b.private_seg_size, 0
	.set _ZN9rocsparseL29bsrmmnn_small_blockdim_kernelILj64ELj8ELj2Eli21rocsparse_complex_numIfES2_S2_S2_EEv20rocsparse_direction_T3_S4_llNS_24const_host_device_scalarIT7_EEPKT2_PKS4_PKT4_PKT5_llS7_PT6_ll16rocsparse_order_21rocsparse_index_base_b.uses_vcc, 1
	.set _ZN9rocsparseL29bsrmmnn_small_blockdim_kernelILj64ELj8ELj2Eli21rocsparse_complex_numIfES2_S2_S2_EEv20rocsparse_direction_T3_S4_llNS_24const_host_device_scalarIT7_EEPKT2_PKS4_PKT4_PKT5_llS7_PT6_ll16rocsparse_order_21rocsparse_index_base_b.uses_flat_scratch, 1
	.set _ZN9rocsparseL29bsrmmnn_small_blockdim_kernelILj64ELj8ELj2Eli21rocsparse_complex_numIfES2_S2_S2_EEv20rocsparse_direction_T3_S4_llNS_24const_host_device_scalarIT7_EEPKT2_PKS4_PKT4_PKT5_llS7_PT6_ll16rocsparse_order_21rocsparse_index_base_b.has_dyn_sized_stack, 0
	.set _ZN9rocsparseL29bsrmmnn_small_blockdim_kernelILj64ELj8ELj2Eli21rocsparse_complex_numIfES2_S2_S2_EEv20rocsparse_direction_T3_S4_llNS_24const_host_device_scalarIT7_EEPKT2_PKS4_PKT4_PKT5_llS7_PT6_ll16rocsparse_order_21rocsparse_index_base_b.has_recursion, 0
	.set _ZN9rocsparseL29bsrmmnn_small_blockdim_kernelILj64ELj8ELj2Eli21rocsparse_complex_numIfES2_S2_S2_EEv20rocsparse_direction_T3_S4_llNS_24const_host_device_scalarIT7_EEPKT2_PKS4_PKT4_PKT5_llS7_PT6_ll16rocsparse_order_21rocsparse_index_base_b.has_indirect_call, 0
	.section	.AMDGPU.csdata,"",@progbits
; Kernel info:
; codeLenInByte = 2100
; TotalNumSgprs: 28
; NumVgprs: 62
; ScratchSize: 0
; MemoryBound: 0
; FloatMode: 240
; IeeeMode: 1
; LDSByteSize: 1792 bytes/workgroup (compile time only)
; SGPRBlocks: 0
; VGPRBlocks: 3
; NumSGPRsForWavesPerEU: 28
; NumVGPRsForWavesPerEU: 62
; NamedBarCnt: 0
; Occupancy: 16
; WaveLimiterHint : 0
; COMPUTE_PGM_RSRC2:SCRATCH_EN: 0
; COMPUTE_PGM_RSRC2:USER_SGPR: 2
; COMPUTE_PGM_RSRC2:TRAP_HANDLER: 0
; COMPUTE_PGM_RSRC2:TGID_X_EN: 1
; COMPUTE_PGM_RSRC2:TGID_Y_EN: 1
; COMPUTE_PGM_RSRC2:TGID_Z_EN: 0
; COMPUTE_PGM_RSRC2:TIDIG_COMP_CNT: 0
	.section	.text._ZN9rocsparseL29bsrmmnn_small_blockdim_kernelILj64ELj8ELj2Ell21rocsparse_complex_numIfES2_S2_S2_EEv20rocsparse_direction_T3_S4_llNS_24const_host_device_scalarIT7_EEPKT2_PKS4_PKT4_PKT5_llS7_PT6_ll16rocsparse_order_21rocsparse_index_base_b,"axG",@progbits,_ZN9rocsparseL29bsrmmnn_small_blockdim_kernelILj64ELj8ELj2Ell21rocsparse_complex_numIfES2_S2_S2_EEv20rocsparse_direction_T3_S4_llNS_24const_host_device_scalarIT7_EEPKT2_PKS4_PKT4_PKT5_llS7_PT6_ll16rocsparse_order_21rocsparse_index_base_b,comdat
	.globl	_ZN9rocsparseL29bsrmmnn_small_blockdim_kernelILj64ELj8ELj2Ell21rocsparse_complex_numIfES2_S2_S2_EEv20rocsparse_direction_T3_S4_llNS_24const_host_device_scalarIT7_EEPKT2_PKS4_PKT4_PKT5_llS7_PT6_ll16rocsparse_order_21rocsparse_index_base_b ; -- Begin function _ZN9rocsparseL29bsrmmnn_small_blockdim_kernelILj64ELj8ELj2Ell21rocsparse_complex_numIfES2_S2_S2_EEv20rocsparse_direction_T3_S4_llNS_24const_host_device_scalarIT7_EEPKT2_PKS4_PKT4_PKT5_llS7_PT6_ll16rocsparse_order_21rocsparse_index_base_b
	.p2align	8
	.type	_ZN9rocsparseL29bsrmmnn_small_blockdim_kernelILj64ELj8ELj2Ell21rocsparse_complex_numIfES2_S2_S2_EEv20rocsparse_direction_T3_S4_llNS_24const_host_device_scalarIT7_EEPKT2_PKS4_PKT4_PKT5_llS7_PT6_ll16rocsparse_order_21rocsparse_index_base_b,@function
_ZN9rocsparseL29bsrmmnn_small_blockdim_kernelILj64ELj8ELj2Ell21rocsparse_complex_numIfES2_S2_S2_EEv20rocsparse_direction_T3_S4_llNS_24const_host_device_scalarIT7_EEPKT2_PKS4_PKT4_PKT5_llS7_PT6_ll16rocsparse_order_21rocsparse_index_base_b: ; @_ZN9rocsparseL29bsrmmnn_small_blockdim_kernelILj64ELj8ELj2Ell21rocsparse_complex_numIfES2_S2_S2_EEv20rocsparse_direction_T3_S4_llNS_24const_host_device_scalarIT7_EEPKT2_PKS4_PKT4_PKT5_llS7_PT6_ll16rocsparse_order_21rocsparse_index_base_b
; %bb.0:
	s_clause 0x2
	s_load_b96 s[20:22], s[0:1], 0x80
	s_load_b64 s[2:3], s[0:1], 0x28
	s_load_b64 s[4:5], s[0:1], 0x60
	v_mov_b32_e32 v5, 0
	s_add_nc_u64 s[6:7], s[0:1], 40
	s_add_nc_u64 s[8:9], s[0:1], 0x60
	s_wait_kmcnt 0x0
	s_bitcmp1_b32 s22, 0
	s_cselect_b32 s3, s7, s3
	s_cselect_b32 s2, s6, s2
	;; [unrolled: 1-line block ×4, first 2 shown]
	s_clause 0x1
	flat_load_b64 v[6:7], v5, s[2:3]
	flat_load_b64 v[8:9], v5, s[4:5]
	s_wait_loadcnt_dscnt 0x101
	s_wait_xcnt 0x1
	v_cmp_eq_f32_e64 s2, 0, v6
	v_cmp_eq_f32_e64 s3, 0, v7
	s_wait_loadcnt_dscnt 0x0
	v_cmp_eq_f32_e64 s4, 1.0, v8
	v_cmp_eq_f32_e32 vcc_lo, 0, v9
	s_and_b32 s2, s2, s3
	s_and_b32 s3, s4, vcc_lo
	s_delay_alu instid0(SALU_CYCLE_1) | instskip(SKIP_2) | instid1(SALU_CYCLE_1)
	s_and_b32 s2, s2, s3
	s_mov_b32 s3, 0
	s_xor_b32 s2, s2, -1
	s_and_saveexec_b32 s4, s2
	s_cbranch_execz .LBB8_25
; %bb.1:
	s_load_b32 s23, s[0:1], 0x90
	s_bfe_u32 s2, ttmp6, 0x4000c
	s_and_b32 s4, ttmp6, 15
	s_add_co_i32 s2, s2, 1
	s_getreg_b32 s22, hwreg(HW_REG_IB_STS2, 6, 4)
	s_mul_i32 s2, ttmp9, s2
	s_delay_alu instid0(SALU_CYCLE_1)
	s_add_co_i32 s4, s4, s2
	s_cmp_eq_u32 s22, 0
	s_cselect_b32 s6, ttmp9, s4
	s_add_nc_u64 s[4:5], s[0:1], 0x90
	s_wait_kmcnt 0x0
	s_cmp_lt_u32 s6, s23
	s_cselect_b32 s2, 12, 18
	s_delay_alu instid0(SALU_CYCLE_1) | instskip(SKIP_4) | instid1(VALU_DEP_1)
	s_add_nc_u64 s[4:5], s[4:5], s[2:3]
	s_load_u16 s3, s[4:5], 0x0
	s_load_b128 s[12:15], s[0:1], 0x8
	s_wait_kmcnt 0x0
	v_mad_u32 v1, s6, s3, v0
	v_lshrrev_b32_e32 v4, 4, v1
	s_delay_alu instid0(VALU_DEP_1)
	v_cmp_gt_i64_e64 s2, s[12:13], v[4:5]
	s_and_b32 exec_lo, exec_lo, s2
	s_cbranch_execz .LBB8_25
; %bb.2:
	s_clause 0x2
	s_load_b128 s[16:19], s[0:1], 0x68
	s_load_b256 s[4:11], s[0:1], 0x30
	s_load_b64 s[24:25], s[0:1], 0x50
	s_bfe_u32 s2, ttmp6, 0x40010
	v_dual_mov_b32 v3, 0 :: v_dual_bitop2_b32 v10, 7, v1 bitop3:0x40
	s_add_co_i32 s2, s2, 1
	s_mul_i32 s23, s23, s3
	s_bfe_u32 s3, ttmp6, 0x40004
	s_mul_i32 s26, ttmp7, s2
	s_lshr_b32 s2, s23, 4
	s_add_co_i32 s3, s3, s26
	s_cmp_eq_u32 s22, 0
	v_dual_mov_b32 v13, v3 :: v_dual_lshrrev_b32 v12, 3, v1
	s_cselect_b32 s3, ttmp7, s3
	s_load_b32 s22, s[0:1], 0x0
	v_lshl_or_b32 v2, s3, 3, v10
	v_dual_lshrrev_b32 v0, 3, v0 :: v_dual_bitop2_b32 v16, 8, v1 bitop3:0x40
	s_wait_kmcnt 0x0
	v_mul_u64_e32 v[18:19], s[18:19], v[12:13]
	v_dual_mov_b32 v17, v3 :: v_dual_mov_b32 v11, v3
	v_mul_u64_e32 v[20:21], s[18:19], v[2:3]
	v_mul_u64_e32 v[26:27], s[24:25], v[2:3]
	v_cmp_neq_f32_e64 s0, 0, v8
	s_xor_b32 s1, vcc_lo, -1
	v_add_nc_u64_e32 v[22:23], s[8:9], v[16:17]
	v_lshl_or_b32 v38, v0, 6, 0x600
	v_mul_u32_u24_e32 v39, 0xc0, v0
	s_or_b32 s1, s0, s1
	s_cmp_lg_u32 s20, 1
	v_cmp_gt_i64_e64 s0, s[14:15], v[2:3]
	s_cselect_b32 s14, -1, 0
	v_lshl_add_u64 v[24:25], v[2:3], 3, s[16:17]
	s_mov_b32 s3, 0
	s_cmp_eq_u32 s22, 0
	v_mul_u32_u24_e32 v28, 24, v10
	s_cselect_b32 vcc_lo, -1, 0
	v_and_b32_e32 v2, -8, v1
	v_add_nc_u64_e32 v[0:1], v[22:23], v[16:17]
	s_mov_b32 s18, s21
	s_mov_b32 s19, s3
	v_xor_b32_e32 v12, 0x80000000, v7
	v_xor_b32_e32 v14, 0x80000000, v9
	v_dual_mov_b32 v13, v6 :: v_dual_mov_b32 v15, v8
	s_delay_alu instid0(VALU_DEP_4)
	v_cndmask_b32_e32 v17, v23, v1, vcc_lo
	v_add_nc_u64_e32 v[2:3], s[16:17], v[2:3]
	v_cndmask_b32_e32 v16, v22, v0, vcc_lo
	v_sub_nc_u64_e64 v[22:23], v[10:11], s[18:19]
	v_lshl_or_b32 v40, v10, 3, v38
	v_lshl_add_u64 v[18:19], v[18:19], 3, v[24:25]
	v_mov_b64_e32 v[24:25], 0
	v_add_nc_u32_e32 v41, v39, v28
	v_lshl_add_u64 v[20:21], v[20:21], 3, v[2:3]
	v_lshl_add_u64 v[26:27], v[26:27], 3, s[10:11]
	s_and_b32 s8, vcc_lo, exec_lo
	s_cselect_b32 s8, 12, 20
	s_mov_b32 s9, s3
	s_cselect_b32 s10, 8, 16
	s_mov_b32 s11, s3
	s_mov_b32 s15, s3
	s_branch .LBB8_4
.LBB8_3:                                ;   in Loop: Header=BB8_4 Depth=1
	s_wait_xcnt 0x0
	s_or_b32 exec_lo, exec_lo, s16
	v_add_nc_u64_e32 v[4:5], s[2:3], v[4:5]
	s_delay_alu instid0(VALU_DEP_1) | instskip(SKIP_1) | instid1(SALU_CYCLE_1)
	v_cmp_le_i64_e32 vcc_lo, s[12:13], v[4:5]
	s_or_b32 s15, vcc_lo, s15
	s_and_not1_b32 exec_lo, exec_lo, s15
	s_cbranch_execz .LBB8_25
.LBB8_4:                                ; =>This Loop Header: Depth=1
                                        ;     Child Loop BB8_7 Depth 2
	v_lshl_add_u64 v[0:1], v[4:5], 3, s[4:5]
	v_dual_mov_b32 v33, 0 :: v_dual_mov_b32 v32, 0
	s_mov_b32 s16, exec_lo
	global_load_b128 v[0:3], v[0:1], off
	s_wait_loadcnt 0x0
	s_wait_xcnt 0x0
	v_cmpx_lt_i64_e64 v[0:1], v[2:3]
	s_cbranch_execz .LBB8_14
; %bb.5:                                ;   in Loop: Header=BB8_4 Depth=1
	v_add_nc_u64_e32 v[30:31], v[22:23], v[0:1]
	v_mov_b32_e32 v32, 0
	v_sub_nc_u64_e64 v[2:3], v[2:3], s[18:19]
	v_sub_nc_u64_e64 v[0:1], v[0:1], s[18:19]
	s_mov_b32 s17, 0
	s_delay_alu instid0(VALU_DEP_3) | instskip(SKIP_2) | instid1(VALU_DEP_2)
	v_mov_b32_e32 v33, v32
	v_lshlrev_b64_e32 v[28:29], 5, v[30:31]
	v_lshl_add_u64 v[30:31], v[30:31], 3, s[6:7]
	v_add_nc_u64_e32 v[28:29], v[16:17], v[28:29]
	s_branch .LBB8_7
.LBB8_6:                                ;   in Loop: Header=BB8_7 Depth=2
	s_wait_xcnt 0x0
	s_or_b32 exec_lo, exec_lo, s20
	v_add_nc_u64_e32 v[0:1], 8, v[0:1]
	v_add_nc_u64_e32 v[28:29], 0x100, v[28:29]
	;; [unrolled: 1-line block ×3, first 2 shown]
	s_delay_alu instid0(VALU_DEP_3) | instskip(SKIP_1) | instid1(SALU_CYCLE_1)
	v_cmp_ge_i64_e32 vcc_lo, v[0:1], v[2:3]
	s_or_b32 s17, vcc_lo, s17
	s_and_not1_b32 exec_lo, exec_lo, s17
	s_cbranch_execz .LBB8_13
.LBB8_7:                                ;   Parent Loop BB8_4 Depth=1
                                        ; =>  This Inner Loop Header: Depth=2
	v_add_nc_u64_e32 v[34:35], v[10:11], v[0:1]
	s_mov_b32 s20, exec_lo
	s_delay_alu instid0(VALU_DEP_1)
	v_cmpx_ge_i64_e64 v[34:35], v[2:3]
	s_xor_b32 s20, exec_lo, s20
; %bb.8:                                ;   in Loop: Header=BB8_7 Depth=2
	ds_store_b64 v40, v[24:25]
; %bb.9:                                ;   in Loop: Header=BB8_7 Depth=2
	s_or_saveexec_b32 s20, s20
	v_dual_mov_b32 v34, 0 :: v_dual_mov_b32 v35, 0
	v_dual_mov_b32 v36, 0 :: v_dual_mov_b32 v37, 0
	s_xor_b32 exec_lo, exec_lo, s20
	s_cbranch_execz .LBB8_11
; %bb.10:                               ;   in Loop: Header=BB8_7 Depth=2
	global_load_b64 v[42:43], v[30:31], off
	v_add_nc_u64_e32 v[44:45], s[10:11], v[28:29]
	v_add_nc_u64_e32 v[46:47], s[8:9], v[28:29]
	s_clause 0x2
	global_load_b64 v[34:35], v[28:29], off
	global_load_b32 v36, v[44:45], off
	global_load_b32 v37, v[46:47], off
	s_wait_loadcnt 0x3
	v_sub_nc_u64_e64 v[42:43], v[42:43], s[18:19]
	s_delay_alu instid0(VALU_DEP_1)
	v_lshlrev_b64_e32 v[42:43], 1, v[42:43]
	ds_store_b64 v40, v[42:43]
.LBB8_11:                               ;   in Loop: Header=BB8_7 Depth=2
	s_wait_xcnt 0x0
	s_or_b32 exec_lo, exec_lo, s20
	s_wait_loadcnt 0x0
	ds_store_2addr_b64 v41, v[34:35], v[36:37] offset1:1
	s_wait_dscnt 0x0
	s_barrier_signal -1
	s_barrier_wait -1
	s_and_saveexec_b32 s20, s0
	s_cbranch_execz .LBB8_6
; %bb.12:                               ;   in Loop: Header=BB8_7 Depth=2
	ds_load_b128 v[34:37], v38
	ds_load_b128 v[42:45], v38 offset:16
	ds_load_b128 v[54:57], v38 offset:32
	;; [unrolled: 1-line block ×3, first 2 shown]
	s_wait_dscnt 0x3
	v_lshl_add_u64 v[34:35], v[34:35], 3, v[26:27]
	s_wait_dscnt 0x2
	v_lshl_add_u64 v[42:43], v[42:43], 3, v[26:27]
	;; [unrolled: 2-line block ×4, first 2 shown]
	s_clause 0x1
	global_load_b128 v[46:49], v[34:35], off
	global_load_b128 v[50:53], v[42:43], off
	s_wait_xcnt 0x1
	v_lshl_add_u64 v[34:35], v[36:37], 3, v[26:27]
	s_wait_xcnt 0x0
	v_lshl_add_u64 v[42:43], v[44:45], 3, v[26:27]
	s_clause 0x1
	global_load_b128 v[62:65], v[54:55], off
	global_load_b128 v[66:69], v[58:59], off
	s_wait_xcnt 0x1
	v_lshl_add_u64 v[54:55], v[56:57], 3, v[26:27]
	s_clause 0x1
	global_load_b128 v[34:37], v[34:35], off
	global_load_b128 v[42:45], v[42:43], off
	;; [unrolled: 5-line block ×3, first 2 shown]
	ds_load_b128 v[70:73], v39
	ds_load_2addr_b64 v[74:77], v39 offset0:3 offset1:4
	s_wait_loadcnt_dscnt 0x701
	v_pk_fma_f32 v[32:33], v[70:71], v[46:47], v[32:33] op_sel_hi:[1,0,1]
	s_delay_alu instid0(VALU_DEP_1) | instskip(SKIP_2) | instid1(VALU_DEP_3)
	v_pk_fma_f32 v[32:33], v[70:71], v[46:47], v[32:33] op_sel:[1,1,0] op_sel_hi:[0,1,1] neg_lo:[1,0,0]
	v_xor_b32_e32 v46, 0x80000000, v73
	v_dual_mov_b32 v47, v72 :: v_dual_mov_b32 v70, v49
	v_pk_fma_f32 v[32:33], v[72:73], v[48:49], v[32:33] op_sel_hi:[1,0,1]
	s_delay_alu instid0(VALU_DEP_1)
	v_pk_fma_f32 v[32:33], v[46:47], v[70:71], v[32:33] op_sel_hi:[1,0,1]
	ds_load_b128 v[46:49], v39 offset:48
	s_wait_loadcnt 0x3
	v_mov_b32_e32 v70, v37
	s_wait_dscnt 0x1
	v_pk_fma_f32 v[32:33], v[74:75], v[34:35], v[32:33] op_sel_hi:[1,0,1]
	s_delay_alu instid0(VALU_DEP_1) | instskip(SKIP_3) | instid1(VALU_DEP_3)
	v_pk_fma_f32 v[32:33], v[74:75], v[34:35], v[32:33] op_sel:[1,1,0] op_sel_hi:[0,1,1] neg_lo:[1,0,0]
	s_wait_xcnt 0x3
	v_xor_b32_e32 v34, 0x80000000, v77
	v_mov_b32_e32 v35, v76
	v_pk_fma_f32 v[32:33], v[76:77], v[36:37], v[32:33] op_sel_hi:[1,0,1]
	s_delay_alu instid0(VALU_DEP_1) | instskip(SKIP_3) | instid1(VALU_DEP_1)
	v_pk_fma_f32 v[36:37], v[34:35], v[70:71], v[32:33] op_sel_hi:[1,0,1]
	ds_load_2addr_b64 v[32:35], v39 offset0:9 offset1:10
	s_wait_dscnt 0x1
	v_pk_fma_f32 v[36:37], v[46:47], v[50:51], v[36:37] op_sel_hi:[1,0,1]
	v_pk_fma_f32 v[36:37], v[46:47], v[50:51], v[36:37] op_sel:[1,1,0] op_sel_hi:[0,1,1] neg_lo:[1,0,0]
	v_xor_b32_e32 v46, 0x80000000, v49
	v_dual_mov_b32 v47, v48 :: v_dual_mov_b32 v50, v53
	s_delay_alu instid0(VALU_DEP_3) | instskip(NEXT) | instid1(VALU_DEP_1)
	v_pk_fma_f32 v[36:37], v[48:49], v[52:53], v[36:37] op_sel_hi:[1,0,1]
	v_pk_fma_f32 v[36:37], v[46:47], v[50:51], v[36:37] op_sel_hi:[1,0,1]
	ds_load_b128 v[46:49], v39 offset:96
	s_wait_loadcnt_dscnt 0x201
	v_pk_fma_f32 v[36:37], v[32:33], v[42:43], v[36:37] op_sel_hi:[1,0,1]
	s_delay_alu instid0(VALU_DEP_1) | instskip(SKIP_3) | instid1(VALU_DEP_3)
	v_pk_fma_f32 v[32:33], v[32:33], v[42:43], v[36:37] op_sel:[1,1,0] op_sel_hi:[0,1,1] neg_lo:[1,0,0]
	v_xor_b32_e32 v36, 0x80000000, v35
	s_wait_xcnt 0x2
	v_dual_mov_b32 v37, v34 :: v_dual_mov_b32 v42, v45
	v_pk_fma_f32 v[32:33], v[34:35], v[44:45], v[32:33] op_sel_hi:[1,0,1]
	v_mov_b32_e32 v44, v65
	s_delay_alu instid0(VALU_DEP_2)
	v_pk_fma_f32 v[36:37], v[36:37], v[42:43], v[32:33] op_sel_hi:[1,0,1]
	ds_load_2addr_b64 v[32:35], v39 offset0:15 offset1:16
	s_wait_dscnt 0x1
	v_xor_b32_e32 v42, 0x80000000, v49
	v_mov_b32_e32 v43, v48
	v_pk_fma_f32 v[36:37], v[46:47], v[62:63], v[36:37] op_sel_hi:[1,0,1]
	s_delay_alu instid0(VALU_DEP_1) | instskip(SKIP_2) | instid1(VALU_DEP_2)
	v_pk_fma_f32 v[36:37], v[46:47], v[62:63], v[36:37] op_sel:[1,1,0] op_sel_hi:[0,1,1] neg_lo:[1,0,0]
	s_wait_loadcnt 0x1
	v_mov_b32_e32 v46, v57
	v_pk_fma_f32 v[36:37], v[48:49], v[64:65], v[36:37] op_sel_hi:[1,0,1]
	s_delay_alu instid0(VALU_DEP_1) | instskip(SKIP_3) | instid1(VALU_DEP_1)
	v_pk_fma_f32 v[36:37], v[42:43], v[44:45], v[36:37] op_sel_hi:[1,0,1]
	ds_load_b128 v[42:45], v39 offset:144
	s_wait_dscnt 0x1
	v_pk_fma_f32 v[36:37], v[32:33], v[54:55], v[36:37] op_sel_hi:[1,0,1]
	v_pk_fma_f32 v[32:33], v[32:33], v[54:55], v[36:37] op_sel:[1,1,0] op_sel_hi:[0,1,1] neg_lo:[1,0,0]
	v_xor_b32_e32 v36, 0x80000000, v35
	v_mov_b32_e32 v37, v34
	s_delay_alu instid0(VALU_DEP_3) | instskip(NEXT) | instid1(VALU_DEP_1)
	v_pk_fma_f32 v[32:33], v[34:35], v[56:57], v[32:33] op_sel_hi:[1,0,1]
	v_pk_fma_f32 v[36:37], v[36:37], v[46:47], v[32:33] op_sel_hi:[1,0,1]
	ds_load_2addr_b64 v[32:35], v39 offset0:21 offset1:22
	v_mov_b32_e32 v46, v69
	s_wait_dscnt 0x1
	v_pk_fma_f32 v[36:37], v[42:43], v[66:67], v[36:37] op_sel_hi:[1,0,1]
	s_delay_alu instid0(VALU_DEP_1) | instskip(SKIP_2) | instid1(VALU_DEP_3)
	v_pk_fma_f32 v[36:37], v[42:43], v[66:67], v[36:37] op_sel:[1,1,0] op_sel_hi:[0,1,1] neg_lo:[1,0,0]
	v_xor_b32_e32 v42, 0x80000000, v45
	v_mov_b32_e32 v43, v44
	v_pk_fma_f32 v[36:37], v[44:45], v[68:69], v[36:37] op_sel_hi:[1,0,1]
	s_delay_alu instid0(VALU_DEP_1) | instskip(SKIP_1) | instid1(VALU_DEP_1)
	v_pk_fma_f32 v[36:37], v[42:43], v[46:47], v[36:37] op_sel_hi:[1,0,1]
	s_wait_loadcnt_dscnt 0x0
	v_pk_fma_f32 v[36:37], v[32:33], v[58:59], v[36:37] op_sel_hi:[1,0,1]
	s_delay_alu instid0(VALU_DEP_1) | instskip(SKIP_2) | instid1(VALU_DEP_3)
	v_pk_fma_f32 v[32:33], v[32:33], v[58:59], v[36:37] op_sel:[1,1,0] op_sel_hi:[0,1,1] neg_lo:[1,0,0]
	v_xor_b32_e32 v36, 0x80000000, v35
	v_mov_b32_e32 v37, v34
	v_pk_fma_f32 v[32:33], v[34:35], v[60:61], v[32:33] op_sel_hi:[1,0,1]
	v_mov_b32_e32 v34, v61
	s_delay_alu instid0(VALU_DEP_1)
	v_pk_fma_f32 v[32:33], v[36:37], v[34:35], v[32:33] op_sel_hi:[1,0,1]
	s_branch .LBB8_6
.LBB8_13:                               ;   in Loop: Header=BB8_4 Depth=1
	s_or_b32 exec_lo, exec_lo, s17
.LBB8_14:                               ;   in Loop: Header=BB8_4 Depth=1
	s_delay_alu instid0(SALU_CYCLE_1)
	s_or_b32 exec_lo, exec_lo, s16
	s_and_saveexec_b32 s16, s0
	s_cbranch_execz .LBB8_3
; %bb.15:                               ;   in Loop: Header=BB8_4 Depth=1
	v_mov_b32_e32 v0, v33
	s_delay_alu instid0(VALU_DEP_1) | instskip(NEXT) | instid1(VALU_DEP_1)
	v_pk_mul_f32 v[0:1], v[0:1], v[12:13] op_sel_hi:[0,1]
	v_pk_fma_f32 v[0:1], v[6:7], v[32:33], v[0:1] op_sel_hi:[1,0,1]
	s_and_saveexec_b32 s17, s1
	s_delay_alu instid0(SALU_CYCLE_1)
	s_xor_b32 s17, exec_lo, s17
	s_cbranch_execz .LBB8_20
; %bb.16:                               ;   in Loop: Header=BB8_4 Depth=1
	s_and_b32 vcc_lo, exec_lo, s14
	s_mov_b32 s20, -1
	s_cbranch_vccz .LBB8_18
; %bb.17:                               ;   in Loop: Header=BB8_4 Depth=1
	global_load_b64 v[2:3], v[18:19], off
	s_mov_b32 s20, 0
	s_wait_loadcnt 0x0
	v_pk_fma_f32 v[28:29], v[8:9], v[2:3], v[0:1] op_sel_hi:[1,0,1]
	s_delay_alu instid0(VALU_DEP_1)
	v_pk_fma_f32 v[2:3], v[14:15], v[2:3], v[28:29] op_sel:[0,1,0]
	global_store_b64 v[18:19], v[2:3], off
.LBB8_18:                               ;   in Loop: Header=BB8_4 Depth=1
	s_and_not1_b32 vcc_lo, exec_lo, s20
	s_cbranch_vccnz .LBB8_20
; %bb.19:                               ;   in Loop: Header=BB8_4 Depth=1
	global_load_b64 v[2:3], v[20:21], off
	s_wait_loadcnt 0x0
	v_pk_fma_f32 v[0:1], v[8:9], v[2:3], v[0:1] op_sel_hi:[1,0,1]
	s_delay_alu instid0(VALU_DEP_1)
	v_pk_fma_f32 v[0:1], v[14:15], v[2:3], v[0:1] op_sel:[0,1,0]
	global_store_b64 v[20:21], v[0:1], off
                                        ; implicit-def: $vgpr0_vgpr1
.LBB8_20:                               ;   in Loop: Header=BB8_4 Depth=1
	s_wait_xcnt 0x0
	s_and_not1_saveexec_b32 s17, s17
	s_cbranch_execz .LBB8_3
; %bb.21:                               ;   in Loop: Header=BB8_4 Depth=1
	s_and_b32 vcc_lo, exec_lo, s14
	s_mov_b32 s17, -1
	s_cbranch_vccz .LBB8_23
; %bb.22:                               ;   in Loop: Header=BB8_4 Depth=1
	s_mov_b32 s17, 0
	global_store_b64 v[18:19], v[0:1], off
.LBB8_23:                               ;   in Loop: Header=BB8_4 Depth=1
	s_and_not1_b32 vcc_lo, exec_lo, s17
	s_cbranch_vccnz .LBB8_3
; %bb.24:                               ;   in Loop: Header=BB8_4 Depth=1
	global_store_b64 v[20:21], v[0:1], off
	s_branch .LBB8_3
.LBB8_25:
	s_sendmsg sendmsg(MSG_DEALLOC_VGPRS)
	s_endpgm
	.section	.rodata,"a",@progbits
	.p2align	6, 0x0
	.amdhsa_kernel _ZN9rocsparseL29bsrmmnn_small_blockdim_kernelILj64ELj8ELj2Ell21rocsparse_complex_numIfES2_S2_S2_EEv20rocsparse_direction_T3_S4_llNS_24const_host_device_scalarIT7_EEPKT2_PKS4_PKT4_PKT5_llS7_PT6_ll16rocsparse_order_21rocsparse_index_base_b
		.amdhsa_group_segment_fixed_size 2048
		.amdhsa_private_segment_fixed_size 0
		.amdhsa_kernarg_size 400
		.amdhsa_user_sgpr_count 2
		.amdhsa_user_sgpr_dispatch_ptr 0
		.amdhsa_user_sgpr_queue_ptr 0
		.amdhsa_user_sgpr_kernarg_segment_ptr 1
		.amdhsa_user_sgpr_dispatch_id 0
		.amdhsa_user_sgpr_kernarg_preload_length 0
		.amdhsa_user_sgpr_kernarg_preload_offset 0
		.amdhsa_user_sgpr_private_segment_size 0
		.amdhsa_wavefront_size32 1
		.amdhsa_uses_dynamic_stack 0
		.amdhsa_enable_private_segment 0
		.amdhsa_system_sgpr_workgroup_id_x 1
		.amdhsa_system_sgpr_workgroup_id_y 1
		.amdhsa_system_sgpr_workgroup_id_z 0
		.amdhsa_system_sgpr_workgroup_info 0
		.amdhsa_system_vgpr_workitem_id 0
		.amdhsa_next_free_vgpr 78
		.amdhsa_next_free_sgpr 27
		.amdhsa_named_barrier_count 0
		.amdhsa_reserve_vcc 1
		.amdhsa_float_round_mode_32 0
		.amdhsa_float_round_mode_16_64 0
		.amdhsa_float_denorm_mode_32 3
		.amdhsa_float_denorm_mode_16_64 3
		.amdhsa_fp16_overflow 0
		.amdhsa_memory_ordered 1
		.amdhsa_forward_progress 1
		.amdhsa_inst_pref_size 17
		.amdhsa_round_robin_scheduling 0
		.amdhsa_exception_fp_ieee_invalid_op 0
		.amdhsa_exception_fp_denorm_src 0
		.amdhsa_exception_fp_ieee_div_zero 0
		.amdhsa_exception_fp_ieee_overflow 0
		.amdhsa_exception_fp_ieee_underflow 0
		.amdhsa_exception_fp_ieee_inexact 0
		.amdhsa_exception_int_div_zero 0
	.end_amdhsa_kernel
	.section	.text._ZN9rocsparseL29bsrmmnn_small_blockdim_kernelILj64ELj8ELj2Ell21rocsparse_complex_numIfES2_S2_S2_EEv20rocsparse_direction_T3_S4_llNS_24const_host_device_scalarIT7_EEPKT2_PKS4_PKT4_PKT5_llS7_PT6_ll16rocsparse_order_21rocsparse_index_base_b,"axG",@progbits,_ZN9rocsparseL29bsrmmnn_small_blockdim_kernelILj64ELj8ELj2Ell21rocsparse_complex_numIfES2_S2_S2_EEv20rocsparse_direction_T3_S4_llNS_24const_host_device_scalarIT7_EEPKT2_PKS4_PKT4_PKT5_llS7_PT6_ll16rocsparse_order_21rocsparse_index_base_b,comdat
.Lfunc_end8:
	.size	_ZN9rocsparseL29bsrmmnn_small_blockdim_kernelILj64ELj8ELj2Ell21rocsparse_complex_numIfES2_S2_S2_EEv20rocsparse_direction_T3_S4_llNS_24const_host_device_scalarIT7_EEPKT2_PKS4_PKT4_PKT5_llS7_PT6_ll16rocsparse_order_21rocsparse_index_base_b, .Lfunc_end8-_ZN9rocsparseL29bsrmmnn_small_blockdim_kernelILj64ELj8ELj2Ell21rocsparse_complex_numIfES2_S2_S2_EEv20rocsparse_direction_T3_S4_llNS_24const_host_device_scalarIT7_EEPKT2_PKS4_PKT4_PKT5_llS7_PT6_ll16rocsparse_order_21rocsparse_index_base_b
                                        ; -- End function
	.set _ZN9rocsparseL29bsrmmnn_small_blockdim_kernelILj64ELj8ELj2Ell21rocsparse_complex_numIfES2_S2_S2_EEv20rocsparse_direction_T3_S4_llNS_24const_host_device_scalarIT7_EEPKT2_PKS4_PKT4_PKT5_llS7_PT6_ll16rocsparse_order_21rocsparse_index_base_b.num_vgpr, 78
	.set _ZN9rocsparseL29bsrmmnn_small_blockdim_kernelILj64ELj8ELj2Ell21rocsparse_complex_numIfES2_S2_S2_EEv20rocsparse_direction_T3_S4_llNS_24const_host_device_scalarIT7_EEPKT2_PKS4_PKT4_PKT5_llS7_PT6_ll16rocsparse_order_21rocsparse_index_base_b.num_agpr, 0
	.set _ZN9rocsparseL29bsrmmnn_small_blockdim_kernelILj64ELj8ELj2Ell21rocsparse_complex_numIfES2_S2_S2_EEv20rocsparse_direction_T3_S4_llNS_24const_host_device_scalarIT7_EEPKT2_PKS4_PKT4_PKT5_llS7_PT6_ll16rocsparse_order_21rocsparse_index_base_b.numbered_sgpr, 27
	.set _ZN9rocsparseL29bsrmmnn_small_blockdim_kernelILj64ELj8ELj2Ell21rocsparse_complex_numIfES2_S2_S2_EEv20rocsparse_direction_T3_S4_llNS_24const_host_device_scalarIT7_EEPKT2_PKS4_PKT4_PKT5_llS7_PT6_ll16rocsparse_order_21rocsparse_index_base_b.num_named_barrier, 0
	.set _ZN9rocsparseL29bsrmmnn_small_blockdim_kernelILj64ELj8ELj2Ell21rocsparse_complex_numIfES2_S2_S2_EEv20rocsparse_direction_T3_S4_llNS_24const_host_device_scalarIT7_EEPKT2_PKS4_PKT4_PKT5_llS7_PT6_ll16rocsparse_order_21rocsparse_index_base_b.private_seg_size, 0
	.set _ZN9rocsparseL29bsrmmnn_small_blockdim_kernelILj64ELj8ELj2Ell21rocsparse_complex_numIfES2_S2_S2_EEv20rocsparse_direction_T3_S4_llNS_24const_host_device_scalarIT7_EEPKT2_PKS4_PKT4_PKT5_llS7_PT6_ll16rocsparse_order_21rocsparse_index_base_b.uses_vcc, 1
	.set _ZN9rocsparseL29bsrmmnn_small_blockdim_kernelILj64ELj8ELj2Ell21rocsparse_complex_numIfES2_S2_S2_EEv20rocsparse_direction_T3_S4_llNS_24const_host_device_scalarIT7_EEPKT2_PKS4_PKT4_PKT5_llS7_PT6_ll16rocsparse_order_21rocsparse_index_base_b.uses_flat_scratch, 1
	.set _ZN9rocsparseL29bsrmmnn_small_blockdim_kernelILj64ELj8ELj2Ell21rocsparse_complex_numIfES2_S2_S2_EEv20rocsparse_direction_T3_S4_llNS_24const_host_device_scalarIT7_EEPKT2_PKS4_PKT4_PKT5_llS7_PT6_ll16rocsparse_order_21rocsparse_index_base_b.has_dyn_sized_stack, 0
	.set _ZN9rocsparseL29bsrmmnn_small_blockdim_kernelILj64ELj8ELj2Ell21rocsparse_complex_numIfES2_S2_S2_EEv20rocsparse_direction_T3_S4_llNS_24const_host_device_scalarIT7_EEPKT2_PKS4_PKT4_PKT5_llS7_PT6_ll16rocsparse_order_21rocsparse_index_base_b.has_recursion, 0
	.set _ZN9rocsparseL29bsrmmnn_small_blockdim_kernelILj64ELj8ELj2Ell21rocsparse_complex_numIfES2_S2_S2_EEv20rocsparse_direction_T3_S4_llNS_24const_host_device_scalarIT7_EEPKT2_PKS4_PKT4_PKT5_llS7_PT6_ll16rocsparse_order_21rocsparse_index_base_b.has_indirect_call, 0
	.section	.AMDGPU.csdata,"",@progbits
; Kernel info:
; codeLenInByte = 2080
; TotalNumSgprs: 29
; NumVgprs: 78
; ScratchSize: 0
; MemoryBound: 0
; FloatMode: 240
; IeeeMode: 1
; LDSByteSize: 2048 bytes/workgroup (compile time only)
; SGPRBlocks: 0
; VGPRBlocks: 4
; NumSGPRsForWavesPerEU: 29
; NumVGPRsForWavesPerEU: 78
; NamedBarCnt: 0
; Occupancy: 12
; WaveLimiterHint : 1
; COMPUTE_PGM_RSRC2:SCRATCH_EN: 0
; COMPUTE_PGM_RSRC2:USER_SGPR: 2
; COMPUTE_PGM_RSRC2:TRAP_HANDLER: 0
; COMPUTE_PGM_RSRC2:TGID_X_EN: 1
; COMPUTE_PGM_RSRC2:TGID_Y_EN: 1
; COMPUTE_PGM_RSRC2:TGID_Z_EN: 0
; COMPUTE_PGM_RSRC2:TIDIG_COMP_CNT: 0
	.section	.text._ZN9rocsparseL29bsrmmnn_small_blockdim_kernelILj64ELj8ELj2Eii21rocsparse_complex_numIdES2_S2_S2_EEv20rocsparse_direction_T3_S4_llNS_24const_host_device_scalarIT7_EEPKT2_PKS4_PKT4_PKT5_llS7_PT6_ll16rocsparse_order_21rocsparse_index_base_b,"axG",@progbits,_ZN9rocsparseL29bsrmmnn_small_blockdim_kernelILj64ELj8ELj2Eii21rocsparse_complex_numIdES2_S2_S2_EEv20rocsparse_direction_T3_S4_llNS_24const_host_device_scalarIT7_EEPKT2_PKS4_PKT4_PKT5_llS7_PT6_ll16rocsparse_order_21rocsparse_index_base_b,comdat
	.globl	_ZN9rocsparseL29bsrmmnn_small_blockdim_kernelILj64ELj8ELj2Eii21rocsparse_complex_numIdES2_S2_S2_EEv20rocsparse_direction_T3_S4_llNS_24const_host_device_scalarIT7_EEPKT2_PKS4_PKT4_PKT5_llS7_PT6_ll16rocsparse_order_21rocsparse_index_base_b ; -- Begin function _ZN9rocsparseL29bsrmmnn_small_blockdim_kernelILj64ELj8ELj2Eii21rocsparse_complex_numIdES2_S2_S2_EEv20rocsparse_direction_T3_S4_llNS_24const_host_device_scalarIT7_EEPKT2_PKS4_PKT4_PKT5_llS7_PT6_ll16rocsparse_order_21rocsparse_index_base_b
	.p2align	8
	.type	_ZN9rocsparseL29bsrmmnn_small_blockdim_kernelILj64ELj8ELj2Eii21rocsparse_complex_numIdES2_S2_S2_EEv20rocsparse_direction_T3_S4_llNS_24const_host_device_scalarIT7_EEPKT2_PKS4_PKT4_PKT5_llS7_PT6_ll16rocsparse_order_21rocsparse_index_base_b,@function
_ZN9rocsparseL29bsrmmnn_small_blockdim_kernelILj64ELj8ELj2Eii21rocsparse_complex_numIdES2_S2_S2_EEv20rocsparse_direction_T3_S4_llNS_24const_host_device_scalarIT7_EEPKT2_PKS4_PKT4_PKT5_llS7_PT6_ll16rocsparse_order_21rocsparse_index_base_b: ; @_ZN9rocsparseL29bsrmmnn_small_blockdim_kernelILj64ELj8ELj2Eii21rocsparse_complex_numIdES2_S2_S2_EEv20rocsparse_direction_T3_S4_llNS_24const_host_device_scalarIT7_EEPKT2_PKS4_PKT4_PKT5_llS7_PT6_ll16rocsparse_order_21rocsparse_index_base_b
; %bb.0:
	s_clause 0x1
	s_load_b96 s[16:18], s[0:1], 0x88
	s_load_b64 s[2:3], s[0:1], 0x20
	v_mov_b32_e32 v1, 0
	s_add_nc_u64 s[4:5], s[0:1], 32
	s_load_b64 s[6:7], s[0:1], 0x60
	s_wait_kmcnt 0x0
	s_bitcmp1_b32 s18, 0
	s_cselect_b32 s3, s5, s3
	s_cselect_b32 s2, s4, s2
	flat_load_b128 v[2:5], v1, s[2:3]
	s_wait_xcnt 0x0
	s_add_nc_u64 s[2:3], s[0:1], 0x60
	s_delay_alu instid0(SALU_CYCLE_1)
	s_cselect_b32 s3, s3, s7
	s_cselect_b32 s2, s2, s6
	flat_load_b128 v[6:9], v1, s[2:3]
	s_wait_loadcnt_dscnt 0x101
	v_cmp_eq_f64_e32 vcc_lo, 0, v[2:3]
	s_wait_xcnt 0x0
	v_cmp_eq_f64_e64 s2, 0, v[4:5]
	s_and_b32 s4, vcc_lo, s2
	s_mov_b32 s2, -1
	s_and_saveexec_b32 s3, s4
	s_cbranch_execz .LBB9_2
; %bb.1:
	s_wait_loadcnt_dscnt 0x0
	v_cmp_neq_f64_e32 vcc_lo, 1.0, v[6:7]
	v_cmp_neq_f64_e64 s2, 0, v[8:9]
	s_or_b32 s2, vcc_lo, s2
	s_delay_alu instid0(SALU_CYCLE_1)
	s_or_not1_b32 s2, s2, exec_lo
.LBB9_2:
	s_or_b32 exec_lo, exec_lo, s3
	s_and_saveexec_b32 s3, s2
	s_cbranch_execz .LBB9_25
; %bb.3:
	s_load_b32 s4, s[0:1], 0x98
	s_bfe_u32 s2, ttmp6, 0x4000c
	s_and_b32 s3, ttmp6, 15
	s_add_co_i32 s2, s2, 1
	s_getreg_b32 s5, hwreg(HW_REG_IB_STS2, 6, 4)
	s_mul_i32 s2, ttmp9, s2
	s_add_nc_u64 s[6:7], s[0:1], 0x98
	s_add_co_i32 s3, s3, s2
	s_cmp_eq_u32 s5, 0
	s_cselect_b32 s8, ttmp9, s3
	s_mov_b32 s3, 0
	s_wait_kmcnt 0x0
	s_cmp_lt_u32 s8, s4
	s_cselect_b32 s2, 12, 18
	s_delay_alu instid0(SALU_CYCLE_1) | instskip(SKIP_4) | instid1(VALU_DEP_1)
	s_add_nc_u64 s[6:7], s[6:7], s[2:3]
	s_load_u16 s2, s[6:7], 0x0
	s_load_b96 s[20:22], s[0:1], 0x0
	s_wait_kmcnt 0x0
	v_mad_u32 v1, s8, s2, v0
	v_lshrrev_b32_e32 v18, 4, v1
	s_delay_alu instid0(VALU_DEP_1)
	v_cmp_gt_i32_e32 vcc_lo, s21, v18
	s_and_b32 exec_lo, exec_lo, vcc_lo
	s_cbranch_execz .LBB9_25
; %bb.4:
	s_bfe_u32 s6, ttmp6, 0x40010
	s_load_b128 s[12:15], s[0:1], 0x70
	s_mul_i32 s4, s4, s2
	s_add_co_i32 s6, s6, 1
	s_lshr_b32 s18, s4, 4
	s_mul_i32 s2, ttmp7, s6
	s_bfe_u32 s4, ttmp6, 0x40004
	v_dual_mov_b32 v19, 0 :: v_dual_bitop2_b32 v28, 7, v1 bitop3:0x40
	s_load_b64 s[6:7], s[0:1], 0x50
	s_add_co_i32 s4, s4, s2
	s_cmp_eq_u32 s5, 0
	s_wait_loadcnt_dscnt 0x0
	v_cmp_neq_f64_e32 vcc_lo, 0, v[6:7]
	s_cselect_b32 s2, ttmp7, s4
	v_dual_mov_b32 v13, v19 :: v_dual_lshrrev_b32 v0, 3, v0
	v_lshl_or_b32 v10, s2, 3, v28
	v_lshrrev_b32_e32 v12, 3, v1
	v_cmp_neq_f64_e64 s2, 0, v[8:9]
	v_bfe_u32 v1, v1, 3, 1
	s_cmp_eq_u32 s20, 0
	v_ashrrev_i32_e32 v11, 31, v10
	s_wait_kmcnt 0x0
	v_mul_u64_e32 v[16:17], s[14:15], v[12:13]
	v_lshl_or_b32 v29, v0, 5, 0xc00
	v_dual_lshlrev_b32 v23, 1, v1 :: v_dual_bitop2_b32 v22, 2, v1 bitop3:0x54
	v_mul_u64_e32 v[14:15], s[14:15], v[10:11]
	v_mul_u32_u24_e32 v30, 0x180, v0
	v_mul_u32_u24_e32 v24, 48, v28
	v_mul_u64_e32 v[20:21], s[6:7], v[10:11]
	s_load_b256 s[4:11], s[0:1], 0x30
	s_wait_xcnt 0x0
	s_cselect_b32 s0, -1, 0
	s_delay_alu instid0(SALU_CYCLE_1) | instskip(SKIP_3) | instid1(VALU_DEP_4)
	v_dual_cndmask_b32 v33, v1, v23, s0 :: v_dual_bitop2_b32 v25, 1, v23 bitop3:0x54
	v_lshl_add_u64 v[0:1], v[10:11], 4, s[12:13]
	v_subrev_nc_u32_e32 v31, s17, v28
	v_lshl_or_b32 v32, v28, 2, v29
	v_cndmask_b32_e64 v34, v22, v25, s0
	v_cmp_gt_i32_e64 s0, s22, v10
	v_add_nc_u32_e32 v35, v30, v24
	s_or_b32 s1, vcc_lo, s2
	s_cmp_lg_u32 s16, 1
	s_cselect_b32 s2, -1, 0
	v_lshl_add_u64 v[0:1], v[16:17], 4, v[0:1]
	v_lshl_add_u64 v[14:15], v[14:15], 4, s[12:13]
	s_wait_kmcnt 0x0
	v_lshl_add_u64 v[20:21], v[20:21], 4, s[10:11]
	s_delay_alu instid0(VALU_DEP_2)
	v_lshl_add_u64 v[22:23], v[12:13], 4, v[14:15]
	s_branch .LBB9_6
.LBB9_5:                                ;   in Loop: Header=BB9_6 Depth=1
	s_wait_xcnt 0x0
	s_or_b32 exec_lo, exec_lo, s10
	v_add_nc_u32_e32 v18, s18, v18
	s_delay_alu instid0(VALU_DEP_1) | instskip(SKIP_1) | instid1(SALU_CYCLE_1)
	v_cmp_le_i32_e32 vcc_lo, s21, v18
	s_or_b32 s3, vcc_lo, s3
	s_and_not1_b32 exec_lo, exec_lo, s3
	s_cbranch_execz .LBB9_25
.LBB9_6:                                ; =>This Loop Header: Depth=1
                                        ;     Child Loop BB9_9 Depth 2
	v_lshl_add_u64 v[10:11], v[18:19], 2, s[4:5]
	v_mov_b64_e32 v[24:25], 0
	v_mov_b64_e32 v[26:27], 0
	s_mov_b32 s10, exec_lo
	global_load_b64 v[10:11], v[10:11], off
	s_wait_loadcnt 0x0
	s_wait_xcnt 0x0
	v_cmpx_lt_i32_e64 v10, v11
	s_cbranch_execz .LBB9_14
; %bb.7:                                ;   in Loop: Header=BB9_6 Depth=1
	v_add_lshl_u32 v12, v31, v10, 2
	v_mov_b64_e32 v[24:25], 0
	v_mov_b64_e32 v[26:27], 0
	v_subrev_nc_u32_e32 v36, s17, v11
	v_subrev_nc_u32_e32 v37, s17, v10
	v_or_b32_e32 v38, v34, v12
	v_or_b32_e32 v39, v33, v12
	s_mov_b32 s11, 0
	s_branch .LBB9_9
.LBB9_8:                                ;   in Loop: Header=BB9_9 Depth=2
	s_wait_xcnt 0x0
	s_or_b32 exec_lo, exec_lo, s12
	v_dual_add_nc_u32 v37, 8, v37 :: v_dual_add_nc_u32 v38, 32, v38
	v_add_nc_u32_e32 v39, 32, v39
	s_delay_alu instid0(VALU_DEP_2) | instskip(SKIP_1) | instid1(SALU_CYCLE_1)
	v_cmp_ge_i32_e32 vcc_lo, v37, v36
	s_or_b32 s11, vcc_lo, s11
	s_and_not1_b32 exec_lo, exec_lo, s11
	s_cbranch_execz .LBB9_13
.LBB9_9:                                ;   Parent Loop BB9_6 Depth=1
                                        ; =>  This Inner Loop Header: Depth=2
	v_mov_b64_e32 v[10:11], 0
	v_mov_b64_e32 v[12:13], 0
	;; [unrolled: 1-line block ×4, first 2 shown]
	v_dual_mov_b32 v41, 0 :: v_dual_add_nc_u32 v40, v28, v37
	s_mov_b32 s12, exec_lo
	s_delay_alu instid0(VALU_DEP_1)
	v_cmpx_lt_i32_e64 v40, v36
	s_cbranch_execz .LBB9_11
; %bb.10:                               ;   in Loop: Header=BB9_9 Depth=2
	global_load_b32 v41, v40, s[6:7] scale_offset
	s_clause 0x1
	global_load_b128 v[10:13], v39, s[8:9] scale_offset
	global_load_b128 v[14:17], v38, s[8:9] scale_offset
	s_wait_loadcnt 0x2
	s_wait_xcnt 0x2
	v_subrev_nc_u32_e32 v40, s17, v41
	s_delay_alu instid0(VALU_DEP_1)
	v_lshlrev_b32_e32 v41, 1, v40
.LBB9_11:                               ;   in Loop: Header=BB9_9 Depth=2
	s_wait_xcnt 0x0
	s_or_b32 exec_lo, exec_lo, s12
	ds_store_b32 v32, v41
	s_wait_loadcnt 0x1
	ds_store_b128 v35, v[10:13]
	s_wait_loadcnt 0x0
	ds_store_b128 v35, v[14:17] offset:16
	s_wait_dscnt 0x0
	s_barrier_signal -1
	s_barrier_wait -1
	s_and_saveexec_b32 s12, s0
	s_cbranch_execz .LBB9_8
; %bb.12:                               ;   in Loop: Header=BB9_9 Depth=2
	ds_load_b128 v[10:13], v29
	ds_load_b128 v[14:17], v29 offset:16
	s_wait_dscnt 0x1
	v_dual_mov_b32 v40, v10 :: v_dual_ashrrev_i32 v41, 31, v10
	s_delay_alu instid0(VALU_DEP_1)
	v_lshl_add_u64 v[48:49], v[40:41], 4, v[20:21]
	s_clause 0x1
	global_load_b128 v[40:43], v[48:49], off
	global_load_b128 v[44:47], v[48:49], off offset:16
	s_wait_xcnt 0x0
	v_dual_mov_b32 v48, v11 :: v_dual_ashrrev_i32 v49, 31, v11
	s_delay_alu instid0(VALU_DEP_1)
	v_lshl_add_u64 v[10:11], v[48:49], 4, v[20:21]
	s_clause 0x1
	global_load_b128 v[48:51], v[10:11], off
	global_load_b128 v[52:55], v[10:11], off offset:16
	s_wait_xcnt 0x0
	v_dual_mov_b32 v10, v12 :: v_dual_ashrrev_i32 v11, 31, v12
	ds_load_b128 v[60:63], v30
	ds_load_b128 v[68:71], v30 offset:16
	v_lshl_add_u64 v[10:11], v[10:11], 4, v[20:21]
	s_clause 0x1
	global_load_b128 v[56:59], v[10:11], off
	global_load_b128 v[64:67], v[10:11], off offset:16
	s_wait_xcnt 0x0
	v_ashrrev_i32_e32 v11, 31, v13
	s_wait_loadcnt_dscnt 0x501
	v_fmac_f64_e32 v[26:27], v[60:61], v[40:41]
	v_fmac_f64_e32 v[24:25], v[62:63], v[40:41]
	s_delay_alu instid0(VALU_DEP_2) | instskip(NEXT) | instid1(VALU_DEP_2)
	v_fma_f64 v[26:27], -v[62:63], v[42:43], v[26:27]
	v_fmac_f64_e32 v[24:25], v[60:61], v[42:43]
	ds_load_b128 v[40:43], v30 offset:48
	s_wait_loadcnt_dscnt 0x401
	v_fmac_f64_e32 v[26:27], v[68:69], v[44:45]
	v_mov_b32_e32 v10, v13
	v_fmac_f64_e32 v[24:25], v[70:71], v[44:45]
	s_delay_alu instid0(VALU_DEP_3) | instskip(NEXT) | instid1(VALU_DEP_3)
	v_fma_f64 v[26:27], -v[70:71], v[46:47], v[26:27]
	v_lshl_add_u64 v[60:61], v[10:11], 4, v[20:21]
	s_delay_alu instid0(VALU_DEP_3)
	v_fmac_f64_e32 v[24:25], v[68:69], v[46:47]
	s_clause 0x1
	global_load_b128 v[10:13], v[60:61], off
	global_load_b128 v[44:47], v[60:61], off offset:16
	s_wait_xcnt 0x0
	ds_load_b128 v[60:63], v30 offset:64
	s_wait_loadcnt_dscnt 0x501
	v_fmac_f64_e32 v[26:27], v[40:41], v[48:49]
	v_fmac_f64_e32 v[24:25], v[42:43], v[48:49]
	s_delay_alu instid0(VALU_DEP_2) | instskip(NEXT) | instid1(VALU_DEP_2)
	v_fma_f64 v[26:27], -v[42:43], v[50:51], v[26:27]
	v_fmac_f64_e32 v[24:25], v[40:41], v[50:51]
	v_dual_mov_b32 v40, v14 :: v_dual_ashrrev_i32 v41, 31, v14
	ds_load_b128 v[48:51], v30 offset:96
	v_lshl_add_u64 v[68:69], v[40:41], 4, v[20:21]
	global_load_b128 v[40:43], v[68:69], off
	s_wait_loadcnt_dscnt 0x501
	v_fmac_f64_e32 v[26:27], v[60:61], v[52:53]
	v_fmac_f64_e32 v[24:25], v[62:63], v[52:53]
	s_delay_alu instid0(VALU_DEP_2) | instskip(NEXT) | instid1(VALU_DEP_2)
	v_fma_f64 v[26:27], -v[62:63], v[54:55], v[26:27]
	v_fmac_f64_e32 v[24:25], v[60:61], v[54:55]
	global_load_b128 v[52:55], v[68:69], off offset:16
	ds_load_b128 v[60:63], v30 offset:112
	s_wait_loadcnt_dscnt 0x501
	v_fmac_f64_e32 v[26:27], v[48:49], v[56:57]
	v_fmac_f64_e32 v[24:25], v[50:51], v[56:57]
	s_delay_alu instid0(VALU_DEP_2) | instskip(NEXT) | instid1(VALU_DEP_2)
	v_fma_f64 v[26:27], -v[50:51], v[58:59], v[26:27]
	v_fmac_f64_e32 v[24:25], v[48:49], v[58:59]
	v_dual_mov_b32 v48, v15 :: v_dual_ashrrev_i32 v49, 31, v15
	ds_load_b128 v[56:59], v30 offset:144
	v_lshl_add_u64 v[14:15], v[48:49], 4, v[20:21]
	global_load_b128 v[48:51], v[14:15], off
	s_wait_loadcnt_dscnt 0x501
	v_fmac_f64_e32 v[26:27], v[60:61], v[64:65]
	v_fmac_f64_e32 v[24:25], v[62:63], v[64:65]
	s_delay_alu instid0(VALU_DEP_2) | instskip(NEXT) | instid1(VALU_DEP_2)
	v_fma_f64 v[26:27], -v[62:63], v[66:67], v[26:27]
	v_fmac_f64_e32 v[24:25], v[60:61], v[66:67]
	global_load_b128 v[60:63], v[14:15], off offset:16
	ds_load_b128 v[64:67], v30 offset:160
	s_wait_loadcnt_dscnt 0x501
	v_fmac_f64_e32 v[26:27], v[56:57], v[10:11]
	v_fmac_f64_e32 v[24:25], v[58:59], v[10:11]
	v_dual_mov_b32 v10, v16 :: v_dual_ashrrev_i32 v11, 31, v16
	s_wait_xcnt 0x0
	s_delay_alu instid0(VALU_DEP_3) | instskip(NEXT) | instid1(VALU_DEP_3)
	v_fma_f64 v[14:15], -v[58:59], v[12:13], v[26:27]
	v_fmac_f64_e32 v[24:25], v[56:57], v[12:13]
	s_delay_alu instid0(VALU_DEP_3)
	v_lshl_add_u64 v[26:27], v[10:11], 4, v[20:21]
	s_clause 0x1
	global_load_b128 v[10:13], v[26:27], off
	global_load_b128 v[56:59], v[26:27], off offset:16
	s_wait_loadcnt_dscnt 0x600
	v_fmac_f64_e32 v[14:15], v[64:65], v[44:45]
	v_fmac_f64_e32 v[24:25], v[66:67], v[44:45]
	s_delay_alu instid0(VALU_DEP_2) | instskip(NEXT) | instid1(VALU_DEP_2)
	v_fma_f64 v[14:15], -v[66:67], v[46:47], v[14:15]
	v_fmac_f64_e32 v[24:25], v[64:65], v[46:47]
	ds_load_b128 v[44:47], v30 offset:192
	ds_load_b128 v[64:67], v30 offset:208
	s_wait_loadcnt_dscnt 0x501
	v_fmac_f64_e32 v[14:15], v[44:45], v[40:41]
	v_fmac_f64_e32 v[24:25], v[46:47], v[40:41]
	s_wait_xcnt 0x0
	s_delay_alu instid0(VALU_DEP_2) | instskip(NEXT) | instid1(VALU_DEP_2)
	v_fma_f64 v[26:27], -v[46:47], v[42:43], v[14:15]
	v_fmac_f64_e32 v[24:25], v[44:45], v[42:43]
	v_dual_mov_b32 v14, v17 :: v_dual_ashrrev_i32 v15, 31, v17
	ds_load_b128 v[40:43], v30 offset:240
	v_lshl_add_u64 v[44:45], v[14:15], 4, v[20:21]
	s_clause 0x1
	global_load_b128 v[14:17], v[44:45], off
	global_load_b128 v[44:47], v[44:45], off offset:16
	s_wait_loadcnt_dscnt 0x601
	v_fmac_f64_e32 v[26:27], v[64:65], v[52:53]
	v_fmac_f64_e32 v[24:25], v[66:67], v[52:53]
	s_delay_alu instid0(VALU_DEP_2) | instskip(NEXT) | instid1(VALU_DEP_2)
	v_fma_f64 v[26:27], -v[66:67], v[54:55], v[26:27]
	v_fmac_f64_e32 v[24:25], v[64:65], v[54:55]
	ds_load_b128 v[52:55], v30 offset:256
	s_wait_loadcnt_dscnt 0x501
	v_fmac_f64_e32 v[26:27], v[40:41], v[48:49]
	v_fmac_f64_e32 v[24:25], v[42:43], v[48:49]
	s_delay_alu instid0(VALU_DEP_2) | instskip(NEXT) | instid1(VALU_DEP_2)
	v_fma_f64 v[26:27], -v[42:43], v[50:51], v[26:27]
	v_fmac_f64_e32 v[24:25], v[40:41], v[50:51]
	ds_load_b128 v[40:43], v30 offset:288
	ds_load_b128 v[48:51], v30 offset:304
	s_wait_loadcnt_dscnt 0x402
	v_fmac_f64_e32 v[26:27], v[52:53], v[60:61]
	v_fmac_f64_e32 v[24:25], v[54:55], v[60:61]
	s_delay_alu instid0(VALU_DEP_2) | instskip(NEXT) | instid1(VALU_DEP_2)
	v_fma_f64 v[26:27], -v[54:55], v[62:63], v[26:27]
	v_fmac_f64_e32 v[24:25], v[52:53], v[62:63]
	s_wait_loadcnt_dscnt 0x301
	s_delay_alu instid0(VALU_DEP_2) | instskip(NEXT) | instid1(VALU_DEP_2)
	v_fmac_f64_e32 v[26:27], v[40:41], v[10:11]
	v_fmac_f64_e32 v[24:25], v[42:43], v[10:11]
	s_delay_alu instid0(VALU_DEP_2) | instskip(NEXT) | instid1(VALU_DEP_2)
	v_fma_f64 v[10:11], -v[42:43], v[12:13], v[26:27]
	v_fmac_f64_e32 v[24:25], v[40:41], v[12:13]
	s_wait_loadcnt_dscnt 0x200
	s_delay_alu instid0(VALU_DEP_2) | instskip(NEXT) | instid1(VALU_DEP_2)
	v_fmac_f64_e32 v[10:11], v[48:49], v[56:57]
	v_fmac_f64_e32 v[24:25], v[50:51], v[56:57]
	s_delay_alu instid0(VALU_DEP_2) | instskip(NEXT) | instid1(VALU_DEP_2)
	v_fma_f64 v[26:27], -v[50:51], v[58:59], v[10:11]
	v_fmac_f64_e32 v[24:25], v[48:49], v[58:59]
	ds_load_b128 v[10:13], v30 offset:336
	ds_load_b128 v[40:43], v30 offset:352
	s_wait_loadcnt_dscnt 0x101
	v_fmac_f64_e32 v[26:27], v[10:11], v[14:15]
	v_fmac_f64_e32 v[24:25], v[12:13], v[14:15]
	s_delay_alu instid0(VALU_DEP_2) | instskip(NEXT) | instid1(VALU_DEP_2)
	v_fma_f64 v[12:13], -v[12:13], v[16:17], v[26:27]
	v_fmac_f64_e32 v[24:25], v[10:11], v[16:17]
	s_wait_loadcnt_dscnt 0x0
	s_delay_alu instid0(VALU_DEP_2) | instskip(NEXT) | instid1(VALU_DEP_2)
	v_fmac_f64_e32 v[12:13], v[40:41], v[44:45]
	v_fmac_f64_e32 v[24:25], v[42:43], v[44:45]
	s_delay_alu instid0(VALU_DEP_2) | instskip(NEXT) | instid1(VALU_DEP_2)
	v_fma_f64 v[26:27], -v[42:43], v[46:47], v[12:13]
	v_fmac_f64_e32 v[24:25], v[40:41], v[46:47]
	s_branch .LBB9_8
.LBB9_13:                               ;   in Loop: Header=BB9_6 Depth=1
	s_or_b32 exec_lo, exec_lo, s11
.LBB9_14:                               ;   in Loop: Header=BB9_6 Depth=1
	s_delay_alu instid0(SALU_CYCLE_1)
	s_or_b32 exec_lo, exec_lo, s10
	s_and_saveexec_b32 s10, s0
	s_cbranch_execz .LBB9_5
; %bb.15:                               ;   in Loop: Header=BB9_6 Depth=1
	s_delay_alu instid0(VALU_DEP_4) | instskip(SKIP_1) | instid1(VALU_DEP_2)
	v_mul_f64_e64 v[10:11], v[24:25], -v[4:5]
	v_mul_f64_e32 v[12:13], v[2:3], v[24:25]
	v_fmac_f64_e32 v[10:11], v[2:3], v[26:27]
	s_delay_alu instid0(VALU_DEP_2) | instskip(SKIP_1) | instid1(SALU_CYCLE_1)
	v_fmac_f64_e32 v[12:13], v[4:5], v[26:27]
	s_and_saveexec_b32 s11, s1
	s_xor_b32 s11, exec_lo, s11
	s_cbranch_execz .LBB9_20
; %bb.16:                               ;   in Loop: Header=BB9_6 Depth=1
	s_and_b32 vcc_lo, exec_lo, s2
	s_mov_b32 s12, -1
	s_cbranch_vccz .LBB9_18
; %bb.17:                               ;   in Loop: Header=BB9_6 Depth=1
	global_load_b128 v[14:17], v[0:1], off
	s_mov_b32 s12, 0
	s_wait_loadcnt 0x0
	v_fma_f64 v[24:25], v[6:7], v[14:15], v[10:11]
	v_fma_f64 v[26:27], v[8:9], v[14:15], v[12:13]
	s_delay_alu instid0(VALU_DEP_2) | instskip(NEXT) | instid1(VALU_DEP_2)
	v_fma_f64 v[24:25], -v[8:9], v[16:17], v[24:25]
	v_fmac_f64_e32 v[26:27], v[6:7], v[16:17]
	global_store_b128 v[0:1], v[24:27], off
.LBB9_18:                               ;   in Loop: Header=BB9_6 Depth=1
	s_and_not1_b32 vcc_lo, exec_lo, s12
	s_cbranch_vccnz .LBB9_20
; %bb.19:                               ;   in Loop: Header=BB9_6 Depth=1
	global_load_b128 v[14:17], v[22:23], off
	s_wait_loadcnt 0x0
	v_fmac_f64_e32 v[10:11], v[6:7], v[14:15]
	v_fmac_f64_e32 v[12:13], v[8:9], v[14:15]
	s_delay_alu instid0(VALU_DEP_2) | instskip(NEXT) | instid1(VALU_DEP_2)
	v_fma_f64 v[10:11], -v[8:9], v[16:17], v[10:11]
	v_fmac_f64_e32 v[12:13], v[6:7], v[16:17]
	global_store_b128 v[22:23], v[10:13], off
                                        ; implicit-def: $vgpr10_vgpr11
.LBB9_20:                               ;   in Loop: Header=BB9_6 Depth=1
	s_wait_xcnt 0x0
	s_and_not1_saveexec_b32 s11, s11
	s_cbranch_execz .LBB9_5
; %bb.21:                               ;   in Loop: Header=BB9_6 Depth=1
	s_and_b32 vcc_lo, exec_lo, s2
	s_mov_b32 s11, -1
	s_cbranch_vccz .LBB9_23
; %bb.22:                               ;   in Loop: Header=BB9_6 Depth=1
	s_mov_b32 s11, 0
	global_store_b128 v[0:1], v[10:13], off
.LBB9_23:                               ;   in Loop: Header=BB9_6 Depth=1
	s_and_not1_b32 vcc_lo, exec_lo, s11
	s_cbranch_vccnz .LBB9_5
; %bb.24:                               ;   in Loop: Header=BB9_6 Depth=1
	global_store_b128 v[22:23], v[10:13], off
	s_branch .LBB9_5
.LBB9_25:
	s_sendmsg sendmsg(MSG_DEALLOC_VGPRS)
	s_endpgm
	.section	.rodata,"a",@progbits
	.p2align	6, 0x0
	.amdhsa_kernel _ZN9rocsparseL29bsrmmnn_small_blockdim_kernelILj64ELj8ELj2Eii21rocsparse_complex_numIdES2_S2_S2_EEv20rocsparse_direction_T3_S4_llNS_24const_host_device_scalarIT7_EEPKT2_PKS4_PKT4_PKT5_llS7_PT6_ll16rocsparse_order_21rocsparse_index_base_b
		.amdhsa_group_segment_fixed_size 3328
		.amdhsa_private_segment_fixed_size 0
		.amdhsa_kernarg_size 408
		.amdhsa_user_sgpr_count 2
		.amdhsa_user_sgpr_dispatch_ptr 0
		.amdhsa_user_sgpr_queue_ptr 0
		.amdhsa_user_sgpr_kernarg_segment_ptr 1
		.amdhsa_user_sgpr_dispatch_id 0
		.amdhsa_user_sgpr_kernarg_preload_length 0
		.amdhsa_user_sgpr_kernarg_preload_offset 0
		.amdhsa_user_sgpr_private_segment_size 0
		.amdhsa_wavefront_size32 1
		.amdhsa_uses_dynamic_stack 0
		.amdhsa_enable_private_segment 0
		.amdhsa_system_sgpr_workgroup_id_x 1
		.amdhsa_system_sgpr_workgroup_id_y 1
		.amdhsa_system_sgpr_workgroup_id_z 0
		.amdhsa_system_sgpr_workgroup_info 0
		.amdhsa_system_vgpr_workitem_id 0
		.amdhsa_next_free_vgpr 72
		.amdhsa_next_free_sgpr 23
		.amdhsa_named_barrier_count 0
		.amdhsa_reserve_vcc 1
		.amdhsa_float_round_mode_32 0
		.amdhsa_float_round_mode_16_64 0
		.amdhsa_float_denorm_mode_32 3
		.amdhsa_float_denorm_mode_16_64 3
		.amdhsa_fp16_overflow 0
		.amdhsa_memory_ordered 1
		.amdhsa_forward_progress 1
		.amdhsa_inst_pref_size 18
		.amdhsa_round_robin_scheduling 0
		.amdhsa_exception_fp_ieee_invalid_op 0
		.amdhsa_exception_fp_denorm_src 0
		.amdhsa_exception_fp_ieee_div_zero 0
		.amdhsa_exception_fp_ieee_overflow 0
		.amdhsa_exception_fp_ieee_underflow 0
		.amdhsa_exception_fp_ieee_inexact 0
		.amdhsa_exception_int_div_zero 0
	.end_amdhsa_kernel
	.section	.text._ZN9rocsparseL29bsrmmnn_small_blockdim_kernelILj64ELj8ELj2Eii21rocsparse_complex_numIdES2_S2_S2_EEv20rocsparse_direction_T3_S4_llNS_24const_host_device_scalarIT7_EEPKT2_PKS4_PKT4_PKT5_llS7_PT6_ll16rocsparse_order_21rocsparse_index_base_b,"axG",@progbits,_ZN9rocsparseL29bsrmmnn_small_blockdim_kernelILj64ELj8ELj2Eii21rocsparse_complex_numIdES2_S2_S2_EEv20rocsparse_direction_T3_S4_llNS_24const_host_device_scalarIT7_EEPKT2_PKS4_PKT4_PKT5_llS7_PT6_ll16rocsparse_order_21rocsparse_index_base_b,comdat
.Lfunc_end9:
	.size	_ZN9rocsparseL29bsrmmnn_small_blockdim_kernelILj64ELj8ELj2Eii21rocsparse_complex_numIdES2_S2_S2_EEv20rocsparse_direction_T3_S4_llNS_24const_host_device_scalarIT7_EEPKT2_PKS4_PKT4_PKT5_llS7_PT6_ll16rocsparse_order_21rocsparse_index_base_b, .Lfunc_end9-_ZN9rocsparseL29bsrmmnn_small_blockdim_kernelILj64ELj8ELj2Eii21rocsparse_complex_numIdES2_S2_S2_EEv20rocsparse_direction_T3_S4_llNS_24const_host_device_scalarIT7_EEPKT2_PKS4_PKT4_PKT5_llS7_PT6_ll16rocsparse_order_21rocsparse_index_base_b
                                        ; -- End function
	.set _ZN9rocsparseL29bsrmmnn_small_blockdim_kernelILj64ELj8ELj2Eii21rocsparse_complex_numIdES2_S2_S2_EEv20rocsparse_direction_T3_S4_llNS_24const_host_device_scalarIT7_EEPKT2_PKS4_PKT4_PKT5_llS7_PT6_ll16rocsparse_order_21rocsparse_index_base_b.num_vgpr, 72
	.set _ZN9rocsparseL29bsrmmnn_small_blockdim_kernelILj64ELj8ELj2Eii21rocsparse_complex_numIdES2_S2_S2_EEv20rocsparse_direction_T3_S4_llNS_24const_host_device_scalarIT7_EEPKT2_PKS4_PKT4_PKT5_llS7_PT6_ll16rocsparse_order_21rocsparse_index_base_b.num_agpr, 0
	.set _ZN9rocsparseL29bsrmmnn_small_blockdim_kernelILj64ELj8ELj2Eii21rocsparse_complex_numIdES2_S2_S2_EEv20rocsparse_direction_T3_S4_llNS_24const_host_device_scalarIT7_EEPKT2_PKS4_PKT4_PKT5_llS7_PT6_ll16rocsparse_order_21rocsparse_index_base_b.numbered_sgpr, 23
	.set _ZN9rocsparseL29bsrmmnn_small_blockdim_kernelILj64ELj8ELj2Eii21rocsparse_complex_numIdES2_S2_S2_EEv20rocsparse_direction_T3_S4_llNS_24const_host_device_scalarIT7_EEPKT2_PKS4_PKT4_PKT5_llS7_PT6_ll16rocsparse_order_21rocsparse_index_base_b.num_named_barrier, 0
	.set _ZN9rocsparseL29bsrmmnn_small_blockdim_kernelILj64ELj8ELj2Eii21rocsparse_complex_numIdES2_S2_S2_EEv20rocsparse_direction_T3_S4_llNS_24const_host_device_scalarIT7_EEPKT2_PKS4_PKT4_PKT5_llS7_PT6_ll16rocsparse_order_21rocsparse_index_base_b.private_seg_size, 0
	.set _ZN9rocsparseL29bsrmmnn_small_blockdim_kernelILj64ELj8ELj2Eii21rocsparse_complex_numIdES2_S2_S2_EEv20rocsparse_direction_T3_S4_llNS_24const_host_device_scalarIT7_EEPKT2_PKS4_PKT4_PKT5_llS7_PT6_ll16rocsparse_order_21rocsparse_index_base_b.uses_vcc, 1
	.set _ZN9rocsparseL29bsrmmnn_small_blockdim_kernelILj64ELj8ELj2Eii21rocsparse_complex_numIdES2_S2_S2_EEv20rocsparse_direction_T3_S4_llNS_24const_host_device_scalarIT7_EEPKT2_PKS4_PKT4_PKT5_llS7_PT6_ll16rocsparse_order_21rocsparse_index_base_b.uses_flat_scratch, 0
	.set _ZN9rocsparseL29bsrmmnn_small_blockdim_kernelILj64ELj8ELj2Eii21rocsparse_complex_numIdES2_S2_S2_EEv20rocsparse_direction_T3_S4_llNS_24const_host_device_scalarIT7_EEPKT2_PKS4_PKT4_PKT5_llS7_PT6_ll16rocsparse_order_21rocsparse_index_base_b.has_dyn_sized_stack, 0
	.set _ZN9rocsparseL29bsrmmnn_small_blockdim_kernelILj64ELj8ELj2Eii21rocsparse_complex_numIdES2_S2_S2_EEv20rocsparse_direction_T3_S4_llNS_24const_host_device_scalarIT7_EEPKT2_PKS4_PKT4_PKT5_llS7_PT6_ll16rocsparse_order_21rocsparse_index_base_b.has_recursion, 0
	.set _ZN9rocsparseL29bsrmmnn_small_blockdim_kernelILj64ELj8ELj2Eii21rocsparse_complex_numIdES2_S2_S2_EEv20rocsparse_direction_T3_S4_llNS_24const_host_device_scalarIT7_EEPKT2_PKS4_PKT4_PKT5_llS7_PT6_ll16rocsparse_order_21rocsparse_index_base_b.has_indirect_call, 0
	.section	.AMDGPU.csdata,"",@progbits
; Kernel info:
; codeLenInByte = 2200
; TotalNumSgprs: 25
; NumVgprs: 72
; ScratchSize: 0
; MemoryBound: 1
; FloatMode: 240
; IeeeMode: 1
; LDSByteSize: 3328 bytes/workgroup (compile time only)
; SGPRBlocks: 0
; VGPRBlocks: 4
; NumSGPRsForWavesPerEU: 25
; NumVGPRsForWavesPerEU: 72
; NamedBarCnt: 0
; Occupancy: 12
; WaveLimiterHint : 0
; COMPUTE_PGM_RSRC2:SCRATCH_EN: 0
; COMPUTE_PGM_RSRC2:USER_SGPR: 2
; COMPUTE_PGM_RSRC2:TRAP_HANDLER: 0
; COMPUTE_PGM_RSRC2:TGID_X_EN: 1
; COMPUTE_PGM_RSRC2:TGID_Y_EN: 1
; COMPUTE_PGM_RSRC2:TGID_Z_EN: 0
; COMPUTE_PGM_RSRC2:TIDIG_COMP_CNT: 0
	.section	.text._ZN9rocsparseL29bsrmmnn_small_blockdim_kernelILj64ELj8ELj2Eli21rocsparse_complex_numIdES2_S2_S2_EEv20rocsparse_direction_T3_S4_llNS_24const_host_device_scalarIT7_EEPKT2_PKS4_PKT4_PKT5_llS7_PT6_ll16rocsparse_order_21rocsparse_index_base_b,"axG",@progbits,_ZN9rocsparseL29bsrmmnn_small_blockdim_kernelILj64ELj8ELj2Eli21rocsparse_complex_numIdES2_S2_S2_EEv20rocsparse_direction_T3_S4_llNS_24const_host_device_scalarIT7_EEPKT2_PKS4_PKT4_PKT5_llS7_PT6_ll16rocsparse_order_21rocsparse_index_base_b,comdat
	.globl	_ZN9rocsparseL29bsrmmnn_small_blockdim_kernelILj64ELj8ELj2Eli21rocsparse_complex_numIdES2_S2_S2_EEv20rocsparse_direction_T3_S4_llNS_24const_host_device_scalarIT7_EEPKT2_PKS4_PKT4_PKT5_llS7_PT6_ll16rocsparse_order_21rocsparse_index_base_b ; -- Begin function _ZN9rocsparseL29bsrmmnn_small_blockdim_kernelILj64ELj8ELj2Eli21rocsparse_complex_numIdES2_S2_S2_EEv20rocsparse_direction_T3_S4_llNS_24const_host_device_scalarIT7_EEPKT2_PKS4_PKT4_PKT5_llS7_PT6_ll16rocsparse_order_21rocsparse_index_base_b
	.p2align	8
	.type	_ZN9rocsparseL29bsrmmnn_small_blockdim_kernelILj64ELj8ELj2Eli21rocsparse_complex_numIdES2_S2_S2_EEv20rocsparse_direction_T3_S4_llNS_24const_host_device_scalarIT7_EEPKT2_PKS4_PKT4_PKT5_llS7_PT6_ll16rocsparse_order_21rocsparse_index_base_b,@function
_ZN9rocsparseL29bsrmmnn_small_blockdim_kernelILj64ELj8ELj2Eli21rocsparse_complex_numIdES2_S2_S2_EEv20rocsparse_direction_T3_S4_llNS_24const_host_device_scalarIT7_EEPKT2_PKS4_PKT4_PKT5_llS7_PT6_ll16rocsparse_order_21rocsparse_index_base_b: ; @_ZN9rocsparseL29bsrmmnn_small_blockdim_kernelILj64ELj8ELj2Eli21rocsparse_complex_numIdES2_S2_S2_EEv20rocsparse_direction_T3_S4_llNS_24const_host_device_scalarIT7_EEPKT2_PKS4_PKT4_PKT5_llS7_PT6_ll16rocsparse_order_21rocsparse_index_base_b
; %bb.0:
	s_clause 0x1
	s_load_b96 s[16:18], s[0:1], 0x88
	s_load_b64 s[2:3], s[0:1], 0x20
	v_mov_b32_e32 v1, 0
	s_add_nc_u64 s[4:5], s[0:1], 32
	s_load_b64 s[6:7], s[0:1], 0x60
	s_wait_kmcnt 0x0
	s_bitcmp1_b32 s18, 0
	s_cselect_b32 s3, s5, s3
	s_cselect_b32 s2, s4, s2
	flat_load_b128 v[2:5], v1, s[2:3]
	s_wait_xcnt 0x0
	s_add_nc_u64 s[2:3], s[0:1], 0x60
	s_delay_alu instid0(SALU_CYCLE_1)
	s_cselect_b32 s3, s3, s7
	s_cselect_b32 s2, s2, s6
	flat_load_b128 v[6:9], v1, s[2:3]
	s_wait_loadcnt_dscnt 0x101
	v_cmp_eq_f64_e32 vcc_lo, 0, v[2:3]
	s_wait_xcnt 0x0
	v_cmp_eq_f64_e64 s2, 0, v[4:5]
	s_and_b32 s4, vcc_lo, s2
	s_mov_b32 s2, -1
	s_and_saveexec_b32 s3, s4
	s_cbranch_execz .LBB10_2
; %bb.1:
	s_wait_loadcnt_dscnt 0x0
	v_cmp_neq_f64_e32 vcc_lo, 1.0, v[6:7]
	v_cmp_neq_f64_e64 s2, 0, v[8:9]
	s_or_b32 s2, vcc_lo, s2
	s_delay_alu instid0(SALU_CYCLE_1)
	s_or_not1_b32 s2, s2, exec_lo
.LBB10_2:
	s_or_b32 exec_lo, exec_lo, s3
	s_and_saveexec_b32 s3, s2
	s_cbranch_execz .LBB10_25
; %bb.3:
	s_load_b32 s2, s[0:1], 0x98
	s_bfe_u32 s3, ttmp6, 0x4000c
	s_and_b32 s4, ttmp6, 15
	s_add_co_i32 s3, s3, 1
	s_mov_b32 s19, 0
	s_mul_i32 s5, ttmp9, s3
	s_getreg_b32 s3, hwreg(HW_REG_IB_STS2, 6, 4)
	s_add_co_i32 s4, s4, s5
	s_cmp_eq_u32 s3, 0
	s_cselect_b32 s8, ttmp9, s4
	s_add_nc_u64 s[4:5], s[0:1], 0x98
	s_wait_kmcnt 0x0
	s_cmp_lt_u32 s8, s2
	s_cselect_b32 s18, 12, 18
	s_delay_alu instid0(SALU_CYCLE_1) | instskip(SKIP_4) | instid1(VALU_DEP_1)
	s_add_nc_u64 s[6:7], s[4:5], s[18:19]
	s_load_u16 s4, s[6:7], 0x0
	s_load_b96 s[20:22], s[0:1], 0x0
	s_wait_kmcnt 0x0
	v_mad_u32 v1, s8, s4, v0
	v_lshrrev_b32_e32 v18, 4, v1
	s_delay_alu instid0(VALU_DEP_1)
	v_cmp_gt_i32_e32 vcc_lo, s21, v18
	s_and_b32 exec_lo, exec_lo, vcc_lo
	s_cbranch_execz .LBB10_25
; %bb.4:
	s_mul_i32 s2, s2, s4
	s_bfe_u32 s6, ttmp6, 0x40010
	s_lshr_b32 s23, s2, 4
	s_clause 0x1
	s_load_b128 s[12:15], s[0:1], 0x70
	s_load_b64 s[4:5], s[0:1], 0x50
	s_add_co_i32 s6, s6, 1
	s_wait_loadcnt_dscnt 0x0
	v_cmp_neq_f64_e32 vcc_lo, 0, v[6:7]
	v_cmp_neq_f64_e64 s2, 0, v[8:9]
	s_mul_i32 s6, ttmp7, s6
	s_bfe_u32 s7, ttmp6, 0x40004
	v_dual_mov_b32 v19, 0 :: v_dual_bitop2_b32 v20, 7, v1 bitop3:0x40
	s_add_co_i32 s7, s7, s6
	s_cmp_eq_u32 s3, 0
	v_lshrrev_b32_e32 v0, 3, v0
	s_cselect_b32 s3, ttmp7, s7
	v_mov_b32_e32 v13, v19
	v_lshl_or_b32 v10, s3, 3, v20
	v_lshrrev_b32_e32 v12, 3, v1
	v_bfe_u32 v1, v1, 3, 1
	v_mul_u32_u24_e32 v43, 0x180, v0
	v_mul_u32_u24_e32 v30, 48, v20
	v_ashrrev_i32_e32 v11, 31, v10
	s_wait_kmcnt 0x0
	v_mul_u64_e32 v[16:17], s[14:15], v[12:13]
	v_dual_mov_b32 v21, v19 :: v_dual_mov_b32 v25, v19
	v_lshl_or_b32 v42, v0, 5, 0xc00
	v_mul_u64_e32 v[14:15], s[14:15], v[10:11]
	v_mul_u64_e32 v[26:27], s[4:5], v[10:11]
	s_load_b256 s[4:11], s[0:1], 0x30
	s_wait_xcnt 0x0
	v_cmp_gt_i32_e64 s0, s22, v10
	v_lshl_add_u64 v[10:11], v[10:11], 4, s[12:13]
	s_mov_b32 s18, s17
	v_lshl_or_b32 v44, v20, 2, v42
	s_mov_b32 s3, s19
	v_add_nc_u32_e32 v45, v43, v30
	s_or_b32 s1, vcc_lo, s2
	s_cmp_lg_u32 s16, 1
	s_cselect_b32 s14, -1, 0
	s_cmp_eq_u32 s20, 0
	s_cselect_b32 s2, -1, 0
	s_delay_alu instid0(SALU_CYCLE_1) | instskip(SKIP_2) | instid1(VALU_DEP_1)
	v_cndmask_b32_e64 v22, 0, 1, s2
	s_and_b32 s2, s2, exec_lo
	s_cselect_b32 s2, 16, 32
	v_lshlrev_b32_e32 v22, v22, v1
	v_sub_nc_u64_e64 v[0:1], v[20:21], s[18:19]
	s_delay_alu instid0(VALU_DEP_2)
	v_lshlrev_b32_e32 v24, 4, v22
	v_lshl_add_u64 v[22:23], v[16:17], 4, v[10:11]
	v_lshl_add_u64 v[14:15], v[14:15], 4, s[12:13]
	s_wait_kmcnt 0x0
	v_lshl_add_u64 v[26:27], v[26:27], 4, s[10:11]
	s_mov_b32 s10, s19
	v_add_nc_u64_e32 v[24:25], s[8:9], v[24:25]
	s_cselect_b32 s8, 24, 40
	v_lshl_add_u64 v[28:29], v[12:13], 4, v[14:15]
	s_mov_b32 s9, s19
	s_branch .LBB10_6
.LBB10_5:                               ;   in Loop: Header=BB10_6 Depth=1
	s_wait_xcnt 0x0
	s_or_b32 exec_lo, exec_lo, s11
	v_add_nc_u32_e32 v18, s23, v18
	s_delay_alu instid0(VALU_DEP_1) | instskip(SKIP_1) | instid1(SALU_CYCLE_1)
	v_cmp_le_i32_e32 vcc_lo, s21, v18
	s_or_b32 s10, vcc_lo, s10
	s_and_not1_b32 exec_lo, exec_lo, s10
	s_cbranch_execz .LBB10_25
.LBB10_6:                               ; =>This Loop Header: Depth=1
                                        ;     Child Loop BB10_9 Depth 2
	v_lshl_add_u64 v[10:11], v[18:19], 3, s[4:5]
	v_mov_b64_e32 v[30:31], 0
	v_mov_b64_e32 v[40:41], 0
	s_mov_b32 s11, exec_lo
	global_load_b128 v[10:13], v[10:11], off
	s_wait_loadcnt 0x0
	s_wait_xcnt 0x0
	v_cmpx_lt_i64_e64 v[10:11], v[12:13]
	s_cbranch_execz .LBB10_14
; %bb.7:                                ;   in Loop: Header=BB10_6 Depth=1
	v_add_nc_u64_e32 v[14:15], v[0:1], v[10:11]
	v_sub_nc_u64_e64 v[32:33], v[12:13], s[18:19]
	v_sub_nc_u64_e64 v[34:35], v[10:11], s[18:19]
	v_mov_b64_e32 v[30:31], 0
	v_mov_b64_e32 v[40:41], 0
	s_mov_b32 s12, 0
	v_lshlrev_b64_e32 v[16:17], 6, v[14:15]
	v_lshl_add_u64 v[38:39], v[14:15], 2, s[6:7]
	s_delay_alu instid0(VALU_DEP_2)
	v_add_nc_u64_e32 v[36:37], v[24:25], v[16:17]
	s_branch .LBB10_9
.LBB10_8:                               ;   in Loop: Header=BB10_9 Depth=2
	s_wait_xcnt 0x0
	s_or_b32 exec_lo, exec_lo, s13
	v_add_nc_u64_e32 v[34:35], 8, v[34:35]
	v_add_nc_u64_e32 v[38:39], 32, v[38:39]
	;; [unrolled: 1-line block ×3, first 2 shown]
	s_delay_alu instid0(VALU_DEP_3) | instskip(SKIP_1) | instid1(SALU_CYCLE_1)
	v_cmp_ge_i64_e32 vcc_lo, v[34:35], v[32:33]
	s_or_b32 s12, vcc_lo, s12
	s_and_not1_b32 exec_lo, exec_lo, s12
	s_cbranch_execz .LBB10_13
.LBB10_9:                               ;   Parent Loop BB10_6 Depth=1
                                        ; =>  This Inner Loop Header: Depth=2
	v_add_nc_u64_e32 v[12:13], v[20:21], v[34:35]
	v_mov_b64_e32 v[14:15], 0
	v_mov_b64_e32 v[16:17], 0
	;; [unrolled: 1-line block ×3, first 2 shown]
	v_mov_b32_e32 v46, 0
	v_cmp_lt_i64_e32 vcc_lo, v[12:13], v[32:33]
	v_mov_b64_e32 v[12:13], 0
	s_and_saveexec_b32 s13, vcc_lo
	s_cbranch_execz .LBB10_11
; %bb.10:                               ;   in Loop: Header=BB10_9 Depth=2
	global_load_b32 v50, v[38:39], off
	v_add_nc_u64_e32 v[46:47], s[2:3], v[36:37]
	v_add_nc_u64_e32 v[48:49], s[8:9], v[36:37]
	s_clause 0x2
	global_load_b128 v[14:17], v[36:37], off
	global_load_b64 v[10:11], v[46:47], off
	global_load_b64 v[12:13], v[48:49], off
	s_wait_loadcnt 0x3
	s_wait_xcnt 0x1
	v_subrev_nc_u32_e32 v46, s17, v50
	s_delay_alu instid0(VALU_DEP_1)
	v_lshlrev_b32_e32 v46, 1, v46
.LBB10_11:                              ;   in Loop: Header=BB10_9 Depth=2
	s_wait_xcnt 0x0
	s_or_b32 exec_lo, exec_lo, s13
	ds_store_b32 v44, v46
	s_wait_loadcnt 0x2
	ds_store_b128 v45, v[14:17]
	s_wait_loadcnt 0x0
	ds_store_b128 v45, v[10:13] offset:16
	s_wait_dscnt 0x0
	s_barrier_signal -1
	s_barrier_wait -1
	s_and_saveexec_b32 s13, s0
	s_cbranch_execz .LBB10_8
; %bb.12:                               ;   in Loop: Header=BB10_9 Depth=2
	ds_load_b128 v[10:13], v42
	ds_load_b128 v[14:17], v42 offset:16
	s_wait_dscnt 0x1
	v_dual_mov_b32 v46, v10 :: v_dual_ashrrev_i32 v47, 31, v10
	s_delay_alu instid0(VALU_DEP_1)
	v_lshl_add_u64 v[54:55], v[46:47], 4, v[26:27]
	s_clause 0x1
	global_load_b128 v[46:49], v[54:55], off
	global_load_b128 v[50:53], v[54:55], off offset:16
	s_wait_xcnt 0x0
	v_dual_mov_b32 v54, v11 :: v_dual_ashrrev_i32 v55, 31, v11
	s_delay_alu instid0(VALU_DEP_1)
	v_lshl_add_u64 v[10:11], v[54:55], 4, v[26:27]
	s_clause 0x1
	global_load_b128 v[54:57], v[10:11], off
	global_load_b128 v[58:61], v[10:11], off offset:16
	s_wait_xcnt 0x0
	v_dual_mov_b32 v10, v12 :: v_dual_ashrrev_i32 v11, 31, v12
	ds_load_b128 v[66:69], v43
	ds_load_b128 v[74:77], v43 offset:16
	v_lshl_add_u64 v[10:11], v[10:11], 4, v[26:27]
	s_clause 0x1
	global_load_b128 v[62:65], v[10:11], off
	global_load_b128 v[70:73], v[10:11], off offset:16
	s_wait_xcnt 0x0
	v_dual_mov_b32 v10, v13 :: v_dual_ashrrev_i32 v11, 31, v13
	s_wait_loadcnt_dscnt 0x501
	v_fmac_f64_e32 v[40:41], v[66:67], v[46:47]
	v_fmac_f64_e32 v[30:31], v[68:69], v[46:47]
	s_delay_alu instid0(VALU_DEP_2) | instskip(NEXT) | instid1(VALU_DEP_2)
	v_fma_f64 v[40:41], -v[68:69], v[48:49], v[40:41]
	v_fmac_f64_e32 v[30:31], v[66:67], v[48:49]
	v_lshl_add_u64 v[66:67], v[10:11], 4, v[26:27]
	ds_load_b128 v[46:49], v43 offset:48
	global_load_b128 v[10:13], v[66:67], off
	s_wait_loadcnt_dscnt 0x501
	v_fmac_f64_e32 v[40:41], v[74:75], v[50:51]
	v_fmac_f64_e32 v[30:31], v[76:77], v[50:51]
	s_delay_alu instid0(VALU_DEP_2) | instskip(NEXT) | instid1(VALU_DEP_2)
	v_fma_f64 v[40:41], -v[76:77], v[52:53], v[40:41]
	v_fmac_f64_e32 v[30:31], v[74:75], v[52:53]
	global_load_b128 v[50:53], v[66:67], off offset:16
	s_wait_xcnt 0x0
	ds_load_b128 v[66:69], v43 offset:64
	s_wait_loadcnt_dscnt 0x501
	v_fmac_f64_e32 v[40:41], v[46:47], v[54:55]
	v_fmac_f64_e32 v[30:31], v[48:49], v[54:55]
	s_delay_alu instid0(VALU_DEP_2) | instskip(NEXT) | instid1(VALU_DEP_2)
	v_fma_f64 v[40:41], -v[48:49], v[56:57], v[40:41]
	v_fmac_f64_e32 v[30:31], v[46:47], v[56:57]
	v_dual_mov_b32 v46, v14 :: v_dual_ashrrev_i32 v47, 31, v14
	ds_load_b128 v[54:57], v43 offset:96
	v_lshl_add_u64 v[74:75], v[46:47], 4, v[26:27]
	global_load_b128 v[46:49], v[74:75], off
	s_wait_loadcnt_dscnt 0x501
	v_fmac_f64_e32 v[40:41], v[66:67], v[58:59]
	v_fmac_f64_e32 v[30:31], v[68:69], v[58:59]
	s_delay_alu instid0(VALU_DEP_2) | instskip(NEXT) | instid1(VALU_DEP_2)
	v_fma_f64 v[40:41], -v[68:69], v[60:61], v[40:41]
	v_fmac_f64_e32 v[30:31], v[66:67], v[60:61]
	global_load_b128 v[58:61], v[74:75], off offset:16
	ds_load_b128 v[66:69], v43 offset:112
	s_wait_loadcnt_dscnt 0x501
	v_fmac_f64_e32 v[40:41], v[54:55], v[62:63]
	v_fmac_f64_e32 v[30:31], v[56:57], v[62:63]
	s_delay_alu instid0(VALU_DEP_2) | instskip(NEXT) | instid1(VALU_DEP_2)
	v_fma_f64 v[40:41], -v[56:57], v[64:65], v[40:41]
	v_fmac_f64_e32 v[30:31], v[54:55], v[64:65]
	v_dual_mov_b32 v54, v15 :: v_dual_ashrrev_i32 v55, 31, v15
	ds_load_b128 v[62:65], v43 offset:144
	v_lshl_add_u64 v[14:15], v[54:55], 4, v[26:27]
	global_load_b128 v[54:57], v[14:15], off
	s_wait_loadcnt_dscnt 0x501
	v_fmac_f64_e32 v[40:41], v[66:67], v[70:71]
	v_fmac_f64_e32 v[30:31], v[68:69], v[70:71]
	s_delay_alu instid0(VALU_DEP_2) | instskip(NEXT) | instid1(VALU_DEP_2)
	v_fma_f64 v[40:41], -v[68:69], v[72:73], v[40:41]
	v_fmac_f64_e32 v[30:31], v[66:67], v[72:73]
	global_load_b128 v[66:69], v[14:15], off offset:16
	ds_load_b128 v[70:73], v43 offset:160
	s_wait_loadcnt_dscnt 0x501
	v_fmac_f64_e32 v[40:41], v[62:63], v[10:11]
	v_fmac_f64_e32 v[30:31], v[64:65], v[10:11]
	v_dual_mov_b32 v10, v16 :: v_dual_ashrrev_i32 v11, 31, v16
	s_wait_xcnt 0x0
	s_delay_alu instid0(VALU_DEP_3) | instskip(NEXT) | instid1(VALU_DEP_3)
	v_fma_f64 v[14:15], -v[64:65], v[12:13], v[40:41]
	v_fmac_f64_e32 v[30:31], v[62:63], v[12:13]
	s_delay_alu instid0(VALU_DEP_3)
	v_lshl_add_u64 v[40:41], v[10:11], 4, v[26:27]
	s_clause 0x1
	global_load_b128 v[10:13], v[40:41], off
	global_load_b128 v[62:65], v[40:41], off offset:16
	s_wait_loadcnt_dscnt 0x600
	v_fmac_f64_e32 v[14:15], v[70:71], v[50:51]
	v_fmac_f64_e32 v[30:31], v[72:73], v[50:51]
	s_delay_alu instid0(VALU_DEP_2) | instskip(NEXT) | instid1(VALU_DEP_2)
	v_fma_f64 v[14:15], -v[72:73], v[52:53], v[14:15]
	v_fmac_f64_e32 v[30:31], v[70:71], v[52:53]
	ds_load_b128 v[50:53], v43 offset:192
	ds_load_b128 v[70:73], v43 offset:208
	s_wait_loadcnt_dscnt 0x501
	v_fmac_f64_e32 v[14:15], v[50:51], v[46:47]
	v_fmac_f64_e32 v[30:31], v[52:53], v[46:47]
	s_wait_xcnt 0x0
	s_delay_alu instid0(VALU_DEP_2) | instskip(NEXT) | instid1(VALU_DEP_2)
	v_fma_f64 v[40:41], -v[52:53], v[48:49], v[14:15]
	v_fmac_f64_e32 v[30:31], v[50:51], v[48:49]
	v_dual_mov_b32 v14, v17 :: v_dual_ashrrev_i32 v15, 31, v17
	ds_load_b128 v[46:49], v43 offset:240
	v_lshl_add_u64 v[50:51], v[14:15], 4, v[26:27]
	s_clause 0x1
	global_load_b128 v[14:17], v[50:51], off
	global_load_b128 v[50:53], v[50:51], off offset:16
	s_wait_loadcnt_dscnt 0x601
	v_fmac_f64_e32 v[40:41], v[70:71], v[58:59]
	v_fmac_f64_e32 v[30:31], v[72:73], v[58:59]
	s_delay_alu instid0(VALU_DEP_2) | instskip(NEXT) | instid1(VALU_DEP_2)
	v_fma_f64 v[40:41], -v[72:73], v[60:61], v[40:41]
	v_fmac_f64_e32 v[30:31], v[70:71], v[60:61]
	ds_load_b128 v[58:61], v43 offset:256
	s_wait_loadcnt_dscnt 0x501
	v_fmac_f64_e32 v[40:41], v[46:47], v[54:55]
	v_fmac_f64_e32 v[30:31], v[48:49], v[54:55]
	s_delay_alu instid0(VALU_DEP_2) | instskip(NEXT) | instid1(VALU_DEP_2)
	v_fma_f64 v[40:41], -v[48:49], v[56:57], v[40:41]
	v_fmac_f64_e32 v[30:31], v[46:47], v[56:57]
	ds_load_b128 v[46:49], v43 offset:288
	ds_load_b128 v[54:57], v43 offset:304
	s_wait_loadcnt_dscnt 0x402
	v_fmac_f64_e32 v[40:41], v[58:59], v[66:67]
	v_fmac_f64_e32 v[30:31], v[60:61], v[66:67]
	s_delay_alu instid0(VALU_DEP_2) | instskip(NEXT) | instid1(VALU_DEP_2)
	v_fma_f64 v[40:41], -v[60:61], v[68:69], v[40:41]
	v_fmac_f64_e32 v[30:31], v[58:59], v[68:69]
	s_wait_loadcnt_dscnt 0x301
	s_delay_alu instid0(VALU_DEP_2) | instskip(NEXT) | instid1(VALU_DEP_2)
	v_fmac_f64_e32 v[40:41], v[46:47], v[10:11]
	v_fmac_f64_e32 v[30:31], v[48:49], v[10:11]
	s_delay_alu instid0(VALU_DEP_2) | instskip(NEXT) | instid1(VALU_DEP_2)
	v_fma_f64 v[10:11], -v[48:49], v[12:13], v[40:41]
	v_fmac_f64_e32 v[30:31], v[46:47], v[12:13]
	s_wait_loadcnt_dscnt 0x200
	s_delay_alu instid0(VALU_DEP_2) | instskip(NEXT) | instid1(VALU_DEP_2)
	v_fmac_f64_e32 v[10:11], v[54:55], v[62:63]
	v_fmac_f64_e32 v[30:31], v[56:57], v[62:63]
	s_delay_alu instid0(VALU_DEP_2) | instskip(NEXT) | instid1(VALU_DEP_2)
	v_fma_f64 v[40:41], -v[56:57], v[64:65], v[10:11]
	v_fmac_f64_e32 v[30:31], v[54:55], v[64:65]
	ds_load_b128 v[10:13], v43 offset:336
	ds_load_b128 v[46:49], v43 offset:352
	s_wait_loadcnt_dscnt 0x101
	v_fmac_f64_e32 v[40:41], v[10:11], v[14:15]
	v_fmac_f64_e32 v[30:31], v[12:13], v[14:15]
	s_delay_alu instid0(VALU_DEP_2) | instskip(NEXT) | instid1(VALU_DEP_2)
	v_fma_f64 v[12:13], -v[12:13], v[16:17], v[40:41]
	v_fmac_f64_e32 v[30:31], v[10:11], v[16:17]
	s_wait_loadcnt_dscnt 0x0
	s_delay_alu instid0(VALU_DEP_2) | instskip(NEXT) | instid1(VALU_DEP_2)
	v_fmac_f64_e32 v[12:13], v[46:47], v[50:51]
	v_fmac_f64_e32 v[30:31], v[48:49], v[50:51]
	s_delay_alu instid0(VALU_DEP_2) | instskip(NEXT) | instid1(VALU_DEP_2)
	v_fma_f64 v[40:41], -v[48:49], v[52:53], v[12:13]
	v_fmac_f64_e32 v[30:31], v[46:47], v[52:53]
	s_branch .LBB10_8
.LBB10_13:                              ;   in Loop: Header=BB10_6 Depth=1
	s_or_b32 exec_lo, exec_lo, s12
.LBB10_14:                              ;   in Loop: Header=BB10_6 Depth=1
	s_delay_alu instid0(SALU_CYCLE_1)
	s_or_b32 exec_lo, exec_lo, s11
	s_and_saveexec_b32 s11, s0
	s_cbranch_execz .LBB10_5
; %bb.15:                               ;   in Loop: Header=BB10_6 Depth=1
	v_mul_f64_e64 v[10:11], v[30:31], -v[4:5]
	v_mul_f64_e32 v[12:13], v[2:3], v[30:31]
	s_delay_alu instid0(VALU_DEP_2) | instskip(NEXT) | instid1(VALU_DEP_2)
	v_fmac_f64_e32 v[10:11], v[2:3], v[40:41]
	v_fmac_f64_e32 v[12:13], v[4:5], v[40:41]
	s_and_saveexec_b32 s12, s1
	s_delay_alu instid0(SALU_CYCLE_1)
	s_xor_b32 s12, exec_lo, s12
	s_cbranch_execz .LBB10_20
; %bb.16:                               ;   in Loop: Header=BB10_6 Depth=1
	s_and_b32 vcc_lo, exec_lo, s14
	s_mov_b32 s13, -1
	s_cbranch_vccz .LBB10_18
; %bb.17:                               ;   in Loop: Header=BB10_6 Depth=1
	global_load_b128 v[14:17], v[22:23], off
	s_mov_b32 s13, 0
	s_wait_loadcnt 0x0
	v_fma_f64 v[30:31], v[6:7], v[14:15], v[10:11]
	v_fma_f64 v[32:33], v[8:9], v[14:15], v[12:13]
	s_delay_alu instid0(VALU_DEP_2) | instskip(NEXT) | instid1(VALU_DEP_2)
	v_fma_f64 v[30:31], -v[8:9], v[16:17], v[30:31]
	v_fmac_f64_e32 v[32:33], v[6:7], v[16:17]
	global_store_b128 v[22:23], v[30:33], off
.LBB10_18:                              ;   in Loop: Header=BB10_6 Depth=1
	s_and_not1_b32 vcc_lo, exec_lo, s13
	s_cbranch_vccnz .LBB10_20
; %bb.19:                               ;   in Loop: Header=BB10_6 Depth=1
	global_load_b128 v[14:17], v[28:29], off
	s_wait_loadcnt 0x0
	v_fmac_f64_e32 v[10:11], v[6:7], v[14:15]
	v_fmac_f64_e32 v[12:13], v[8:9], v[14:15]
	s_delay_alu instid0(VALU_DEP_2) | instskip(NEXT) | instid1(VALU_DEP_2)
	v_fma_f64 v[10:11], -v[8:9], v[16:17], v[10:11]
	v_fmac_f64_e32 v[12:13], v[6:7], v[16:17]
	global_store_b128 v[28:29], v[10:13], off
                                        ; implicit-def: $vgpr10_vgpr11
.LBB10_20:                              ;   in Loop: Header=BB10_6 Depth=1
	s_wait_xcnt 0x0
	s_and_not1_saveexec_b32 s12, s12
	s_cbranch_execz .LBB10_5
; %bb.21:                               ;   in Loop: Header=BB10_6 Depth=1
	s_and_b32 vcc_lo, exec_lo, s14
	s_mov_b32 s12, -1
	s_cbranch_vccz .LBB10_23
; %bb.22:                               ;   in Loop: Header=BB10_6 Depth=1
	s_mov_b32 s12, 0
	global_store_b128 v[22:23], v[10:13], off
.LBB10_23:                              ;   in Loop: Header=BB10_6 Depth=1
	s_and_not1_b32 vcc_lo, exec_lo, s12
	s_cbranch_vccnz .LBB10_5
; %bb.24:                               ;   in Loop: Header=BB10_6 Depth=1
	global_store_b128 v[28:29], v[10:13], off
	s_branch .LBB10_5
.LBB10_25:
	s_sendmsg sendmsg(MSG_DEALLOC_VGPRS)
	s_endpgm
	.section	.rodata,"a",@progbits
	.p2align	6, 0x0
	.amdhsa_kernel _ZN9rocsparseL29bsrmmnn_small_blockdim_kernelILj64ELj8ELj2Eli21rocsparse_complex_numIdES2_S2_S2_EEv20rocsparse_direction_T3_S4_llNS_24const_host_device_scalarIT7_EEPKT2_PKS4_PKT4_PKT5_llS7_PT6_ll16rocsparse_order_21rocsparse_index_base_b
		.amdhsa_group_segment_fixed_size 3328
		.amdhsa_private_segment_fixed_size 0
		.amdhsa_kernarg_size 408
		.amdhsa_user_sgpr_count 2
		.amdhsa_user_sgpr_dispatch_ptr 0
		.amdhsa_user_sgpr_queue_ptr 0
		.amdhsa_user_sgpr_kernarg_segment_ptr 1
		.amdhsa_user_sgpr_dispatch_id 0
		.amdhsa_user_sgpr_kernarg_preload_length 0
		.amdhsa_user_sgpr_kernarg_preload_offset 0
		.amdhsa_user_sgpr_private_segment_size 0
		.amdhsa_wavefront_size32 1
		.amdhsa_uses_dynamic_stack 0
		.amdhsa_enable_private_segment 0
		.amdhsa_system_sgpr_workgroup_id_x 1
		.amdhsa_system_sgpr_workgroup_id_y 1
		.amdhsa_system_sgpr_workgroup_id_z 0
		.amdhsa_system_sgpr_workgroup_info 0
		.amdhsa_system_vgpr_workitem_id 0
		.amdhsa_next_free_vgpr 78
		.amdhsa_next_free_sgpr 24
		.amdhsa_named_barrier_count 0
		.amdhsa_reserve_vcc 1
		.amdhsa_float_round_mode_32 0
		.amdhsa_float_round_mode_16_64 0
		.amdhsa_float_denorm_mode_32 3
		.amdhsa_float_denorm_mode_16_64 3
		.amdhsa_fp16_overflow 0
		.amdhsa_memory_ordered 1
		.amdhsa_forward_progress 1
		.amdhsa_inst_pref_size 18
		.amdhsa_round_robin_scheduling 0
		.amdhsa_exception_fp_ieee_invalid_op 0
		.amdhsa_exception_fp_denorm_src 0
		.amdhsa_exception_fp_ieee_div_zero 0
		.amdhsa_exception_fp_ieee_overflow 0
		.amdhsa_exception_fp_ieee_underflow 0
		.amdhsa_exception_fp_ieee_inexact 0
		.amdhsa_exception_int_div_zero 0
	.end_amdhsa_kernel
	.section	.text._ZN9rocsparseL29bsrmmnn_small_blockdim_kernelILj64ELj8ELj2Eli21rocsparse_complex_numIdES2_S2_S2_EEv20rocsparse_direction_T3_S4_llNS_24const_host_device_scalarIT7_EEPKT2_PKS4_PKT4_PKT5_llS7_PT6_ll16rocsparse_order_21rocsparse_index_base_b,"axG",@progbits,_ZN9rocsparseL29bsrmmnn_small_blockdim_kernelILj64ELj8ELj2Eli21rocsparse_complex_numIdES2_S2_S2_EEv20rocsparse_direction_T3_S4_llNS_24const_host_device_scalarIT7_EEPKT2_PKS4_PKT4_PKT5_llS7_PT6_ll16rocsparse_order_21rocsparse_index_base_b,comdat
.Lfunc_end10:
	.size	_ZN9rocsparseL29bsrmmnn_small_blockdim_kernelILj64ELj8ELj2Eli21rocsparse_complex_numIdES2_S2_S2_EEv20rocsparse_direction_T3_S4_llNS_24const_host_device_scalarIT7_EEPKT2_PKS4_PKT4_PKT5_llS7_PT6_ll16rocsparse_order_21rocsparse_index_base_b, .Lfunc_end10-_ZN9rocsparseL29bsrmmnn_small_blockdim_kernelILj64ELj8ELj2Eli21rocsparse_complex_numIdES2_S2_S2_EEv20rocsparse_direction_T3_S4_llNS_24const_host_device_scalarIT7_EEPKT2_PKS4_PKT4_PKT5_llS7_PT6_ll16rocsparse_order_21rocsparse_index_base_b
                                        ; -- End function
	.set _ZN9rocsparseL29bsrmmnn_small_blockdim_kernelILj64ELj8ELj2Eli21rocsparse_complex_numIdES2_S2_S2_EEv20rocsparse_direction_T3_S4_llNS_24const_host_device_scalarIT7_EEPKT2_PKS4_PKT4_PKT5_llS7_PT6_ll16rocsparse_order_21rocsparse_index_base_b.num_vgpr, 78
	.set _ZN9rocsparseL29bsrmmnn_small_blockdim_kernelILj64ELj8ELj2Eli21rocsparse_complex_numIdES2_S2_S2_EEv20rocsparse_direction_T3_S4_llNS_24const_host_device_scalarIT7_EEPKT2_PKS4_PKT4_PKT5_llS7_PT6_ll16rocsparse_order_21rocsparse_index_base_b.num_agpr, 0
	.set _ZN9rocsparseL29bsrmmnn_small_blockdim_kernelILj64ELj8ELj2Eli21rocsparse_complex_numIdES2_S2_S2_EEv20rocsparse_direction_T3_S4_llNS_24const_host_device_scalarIT7_EEPKT2_PKS4_PKT4_PKT5_llS7_PT6_ll16rocsparse_order_21rocsparse_index_base_b.numbered_sgpr, 24
	.set _ZN9rocsparseL29bsrmmnn_small_blockdim_kernelILj64ELj8ELj2Eli21rocsparse_complex_numIdES2_S2_S2_EEv20rocsparse_direction_T3_S4_llNS_24const_host_device_scalarIT7_EEPKT2_PKS4_PKT4_PKT5_llS7_PT6_ll16rocsparse_order_21rocsparse_index_base_b.num_named_barrier, 0
	.set _ZN9rocsparseL29bsrmmnn_small_blockdim_kernelILj64ELj8ELj2Eli21rocsparse_complex_numIdES2_S2_S2_EEv20rocsparse_direction_T3_S4_llNS_24const_host_device_scalarIT7_EEPKT2_PKS4_PKT4_PKT5_llS7_PT6_ll16rocsparse_order_21rocsparse_index_base_b.private_seg_size, 0
	.set _ZN9rocsparseL29bsrmmnn_small_blockdim_kernelILj64ELj8ELj2Eli21rocsparse_complex_numIdES2_S2_S2_EEv20rocsparse_direction_T3_S4_llNS_24const_host_device_scalarIT7_EEPKT2_PKS4_PKT4_PKT5_llS7_PT6_ll16rocsparse_order_21rocsparse_index_base_b.uses_vcc, 1
	.set _ZN9rocsparseL29bsrmmnn_small_blockdim_kernelILj64ELj8ELj2Eli21rocsparse_complex_numIdES2_S2_S2_EEv20rocsparse_direction_T3_S4_llNS_24const_host_device_scalarIT7_EEPKT2_PKS4_PKT4_PKT5_llS7_PT6_ll16rocsparse_order_21rocsparse_index_base_b.uses_flat_scratch, 0
	.set _ZN9rocsparseL29bsrmmnn_small_blockdim_kernelILj64ELj8ELj2Eli21rocsparse_complex_numIdES2_S2_S2_EEv20rocsparse_direction_T3_S4_llNS_24const_host_device_scalarIT7_EEPKT2_PKS4_PKT4_PKT5_llS7_PT6_ll16rocsparse_order_21rocsparse_index_base_b.has_dyn_sized_stack, 0
	.set _ZN9rocsparseL29bsrmmnn_small_blockdim_kernelILj64ELj8ELj2Eli21rocsparse_complex_numIdES2_S2_S2_EEv20rocsparse_direction_T3_S4_llNS_24const_host_device_scalarIT7_EEPKT2_PKS4_PKT4_PKT5_llS7_PT6_ll16rocsparse_order_21rocsparse_index_base_b.has_recursion, 0
	.set _ZN9rocsparseL29bsrmmnn_small_blockdim_kernelILj64ELj8ELj2Eli21rocsparse_complex_numIdES2_S2_S2_EEv20rocsparse_direction_T3_S4_llNS_24const_host_device_scalarIT7_EEPKT2_PKS4_PKT4_PKT5_llS7_PT6_ll16rocsparse_order_21rocsparse_index_base_b.has_indirect_call, 0
	.section	.AMDGPU.csdata,"",@progbits
; Kernel info:
; codeLenInByte = 2256
; TotalNumSgprs: 26
; NumVgprs: 78
; ScratchSize: 0
; MemoryBound: 0
; FloatMode: 240
; IeeeMode: 1
; LDSByteSize: 3328 bytes/workgroup (compile time only)
; SGPRBlocks: 0
; VGPRBlocks: 4
; NumSGPRsForWavesPerEU: 26
; NumVGPRsForWavesPerEU: 78
; NamedBarCnt: 0
; Occupancy: 12
; WaveLimiterHint : 0
; COMPUTE_PGM_RSRC2:SCRATCH_EN: 0
; COMPUTE_PGM_RSRC2:USER_SGPR: 2
; COMPUTE_PGM_RSRC2:TRAP_HANDLER: 0
; COMPUTE_PGM_RSRC2:TGID_X_EN: 1
; COMPUTE_PGM_RSRC2:TGID_Y_EN: 1
; COMPUTE_PGM_RSRC2:TGID_Z_EN: 0
; COMPUTE_PGM_RSRC2:TIDIG_COMP_CNT: 0
	.section	.text._ZN9rocsparseL29bsrmmnn_small_blockdim_kernelILj64ELj8ELj2Ell21rocsparse_complex_numIdES2_S2_S2_EEv20rocsparse_direction_T3_S4_llNS_24const_host_device_scalarIT7_EEPKT2_PKS4_PKT4_PKT5_llS7_PT6_ll16rocsparse_order_21rocsparse_index_base_b,"axG",@progbits,_ZN9rocsparseL29bsrmmnn_small_blockdim_kernelILj64ELj8ELj2Ell21rocsparse_complex_numIdES2_S2_S2_EEv20rocsparse_direction_T3_S4_llNS_24const_host_device_scalarIT7_EEPKT2_PKS4_PKT4_PKT5_llS7_PT6_ll16rocsparse_order_21rocsparse_index_base_b,comdat
	.globl	_ZN9rocsparseL29bsrmmnn_small_blockdim_kernelILj64ELj8ELj2Ell21rocsparse_complex_numIdES2_S2_S2_EEv20rocsparse_direction_T3_S4_llNS_24const_host_device_scalarIT7_EEPKT2_PKS4_PKT4_PKT5_llS7_PT6_ll16rocsparse_order_21rocsparse_index_base_b ; -- Begin function _ZN9rocsparseL29bsrmmnn_small_blockdim_kernelILj64ELj8ELj2Ell21rocsparse_complex_numIdES2_S2_S2_EEv20rocsparse_direction_T3_S4_llNS_24const_host_device_scalarIT7_EEPKT2_PKS4_PKT4_PKT5_llS7_PT6_ll16rocsparse_order_21rocsparse_index_base_b
	.p2align	8
	.type	_ZN9rocsparseL29bsrmmnn_small_blockdim_kernelILj64ELj8ELj2Ell21rocsparse_complex_numIdES2_S2_S2_EEv20rocsparse_direction_T3_S4_llNS_24const_host_device_scalarIT7_EEPKT2_PKS4_PKT4_PKT5_llS7_PT6_ll16rocsparse_order_21rocsparse_index_base_b,@function
_ZN9rocsparseL29bsrmmnn_small_blockdim_kernelILj64ELj8ELj2Ell21rocsparse_complex_numIdES2_S2_S2_EEv20rocsparse_direction_T3_S4_llNS_24const_host_device_scalarIT7_EEPKT2_PKS4_PKT4_PKT5_llS7_PT6_ll16rocsparse_order_21rocsparse_index_base_b: ; @_ZN9rocsparseL29bsrmmnn_small_blockdim_kernelILj64ELj8ELj2Ell21rocsparse_complex_numIdES2_S2_S2_EEv20rocsparse_direction_T3_S4_llNS_24const_host_device_scalarIT7_EEPKT2_PKS4_PKT4_PKT5_llS7_PT6_ll16rocsparse_order_21rocsparse_index_base_b
; %bb.0:
	s_clause 0x1
	s_load_b96 s[20:22], s[0:1], 0x90
	s_load_b64 s[2:3], s[0:1], 0x28
	v_mov_b32_e32 v1, 0
	s_add_nc_u64 s[4:5], s[0:1], 40
	s_load_b64 s[6:7], s[0:1], 0x68
	s_wait_kmcnt 0x0
	s_bitcmp1_b32 s22, 0
	s_cselect_b32 s3, s5, s3
	s_cselect_b32 s2, s4, s2
	flat_load_b128 v[2:5], v1, s[2:3]
	s_wait_xcnt 0x0
	s_add_nc_u64 s[2:3], s[0:1], 0x68
	s_delay_alu instid0(SALU_CYCLE_1)
	s_cselect_b32 s3, s3, s7
	s_cselect_b32 s2, s2, s6
	flat_load_b128 v[6:9], v1, s[2:3]
	s_wait_loadcnt_dscnt 0x101
	v_cmp_eq_f64_e32 vcc_lo, 0, v[2:3]
	s_wait_xcnt 0x0
	v_cmp_eq_f64_e64 s2, 0, v[4:5]
	s_and_b32 s4, vcc_lo, s2
	s_mov_b32 s2, -1
	s_and_saveexec_b32 s3, s4
	s_cbranch_execz .LBB11_2
; %bb.1:
	s_wait_loadcnt_dscnt 0x0
	v_cmp_neq_f64_e32 vcc_lo, 1.0, v[6:7]
	v_cmp_neq_f64_e64 s2, 0, v[8:9]
	s_or_b32 s2, vcc_lo, s2
	s_delay_alu instid0(SALU_CYCLE_1)
	s_or_not1_b32 s2, s2, exec_lo
.LBB11_2:
	s_or_b32 exec_lo, exec_lo, s3
	s_and_saveexec_b32 s3, s2
	s_cbranch_execz .LBB11_27
; %bb.3:
	s_load_b32 s2, s[0:1], 0xa0
	s_bfe_u32 s3, ttmp6, 0x4000c
	s_and_b32 s4, ttmp6, 15
	s_add_co_i32 s3, s3, 1
	s_mov_b32 s23, 0
	s_mul_i32 s5, ttmp9, s3
	s_getreg_b32 s3, hwreg(HW_REG_IB_STS2, 6, 4)
	s_add_co_i32 s4, s4, s5
	s_cmp_eq_u32 s3, 0
	s_cselect_b32 s6, ttmp9, s4
	s_add_nc_u64 s[4:5], s[0:1], 0xa0
	s_wait_kmcnt 0x0
	s_cmp_lt_u32 s6, s2
	s_cselect_b32 s22, 12, 18
	s_delay_alu instid0(SALU_CYCLE_1) | instskip(SKIP_4) | instid1(VALU_DEP_1)
	s_add_nc_u64 s[4:5], s[4:5], s[22:23]
	s_load_u16 s22, s[4:5], 0x0
	s_load_b128 s[12:15], s[0:1], 0x8
	s_wait_kmcnt 0x0
	v_mad_u32 v1, s6, s22, v0
	v_dual_mov_b32 v19, 0 :: v_dual_lshrrev_b32 v18, 4, v1
	s_delay_alu instid0(VALU_DEP_1)
	v_cmp_gt_i64_e32 vcc_lo, s[12:13], v[18:19]
	s_and_b32 exec_lo, exec_lo, vcc_lo
	s_cbranch_execz .LBB11_27
; %bb.4:
	s_clause 0x1
	s_load_b128 s[16:19], s[0:1], 0x78
	s_load_b64 s[24:25], s[0:1], 0x58
	s_bfe_u32 s26, ttmp6, 0x40010
	s_mul_i32 s2, s2, s22
	s_add_co_i32 s26, s26, 1
	s_bfe_u32 s27, ttmp6, 0x40004
	s_mul_i32 s26, ttmp7, s26
	v_mov_b64_e32 v[20:21], v[18:19]
	s_lshr_b32 s22, s2, 4
	s_add_co_i32 s27, s27, s26
	v_dual_mov_b32 v11, v19 :: v_dual_bitop2_b32 v18, 7, v1 bitop3:0x40
	s_cmp_eq_u32 s3, 0
	s_wait_loadcnt_dscnt 0x0
	v_cmp_neq_f64_e32 vcc_lo, 0, v[6:7]
	v_cmp_neq_f64_e64 s2, 0, v[8:9]
	s_cselect_b32 s3, ttmp7, s27
	v_dual_mov_b32 v13, v19 :: v_dual_lshrrev_b32 v12, 3, v1
	v_lshl_or_b32 v10, s3, 3, v18
	s_load_b256 s[4:11], s[0:1], 0x38
	v_dual_lshlrev_b32 v1, 1, v1 :: v_dual_lshrrev_b32 v22, 3, v0
	s_wait_kmcnt 0x0
	v_mul_u64_e32 v[14:15], s[18:19], v[12:13]
	v_mul_u64_e32 v[16:17], s[18:19], v[10:11]
	;; [unrolled: 1-line block ×3, first 2 shown]
	s_load_b32 s24, s[0:1], 0x0
	v_dual_mov_b32 v25, v19 :: v_dual_bitop2_b32 v24, 16, v1 bitop3:0x40
	v_lshl_or_b32 v44, v22, 6, 0xc00
	v_mul_u32_u24_e32 v45, 0x180, v22
	v_mul_u32_u24_e32 v32, 48, v18
	s_wait_xcnt 0x0
	v_cmp_gt_i64_e64 s0, s[14:15], v[10:11]
	v_lshl_add_u64 v[10:11], v[10:11], 4, s[16:17]
	v_lshl_add_u64 v[12:13], v[12:13], 4, s[16:17]
	s_mov_b32 s18, s21
	s_mov_b32 s19, s23
	v_mov_b64_e32 v[0:1], 0
	v_sub_nc_u64_e64 v[22:23], v[18:19], s[18:19]
	v_lshl_or_b32 v46, v18, 3, v44
	v_add_nc_u64_e32 v[26:27], s[8:9], v[24:25]
	v_add_nc_u32_e32 v47, v45, v32
	s_mov_b32 s3, s23
	s_mov_b32 s9, s23
	s_delay_alu instid0(VALU_DEP_2)
	v_add_nc_u64_e32 v[24:25], v[26:27], v[24:25]
	s_or_b32 s1, vcc_lo, s2
	s_cmp_lg_u32 s20, 1
	s_cselect_b32 s14, -1, 0
	s_wait_kmcnt 0x0
	s_cmp_eq_u32 s24, 0
	s_cselect_b32 vcc_lo, -1, 0
	v_dual_cndmask_b32 v25, v27, v25 :: v_dual_cndmask_b32 v24, v26, v24
	v_lshl_add_u64 v[26:27], v[14:15], 4, v[10:11]
	v_lshl_add_u64 v[28:29], v[16:17], 4, v[12:13]
	;; [unrolled: 1-line block ×3, first 2 shown]
	s_and_b32 s2, vcc_lo, exec_lo
	s_cselect_b32 s2, 24, 40
	s_cselect_b32 s8, 16, 32
	s_mov_b32 s10, s23
	s_branch .LBB11_6
.LBB11_5:                               ;   in Loop: Header=BB11_6 Depth=1
	s_wait_xcnt 0x0
	s_or_b32 exec_lo, exec_lo, s11
	v_add_nc_u64_e32 v[20:21], s[22:23], v[20:21]
	s_delay_alu instid0(VALU_DEP_1) | instskip(SKIP_1) | instid1(SALU_CYCLE_1)
	v_cmp_le_i64_e32 vcc_lo, s[12:13], v[20:21]
	s_or_b32 s10, vcc_lo, s10
	s_and_not1_b32 exec_lo, exec_lo, s10
	s_cbranch_execz .LBB11_27
.LBB11_6:                               ; =>This Loop Header: Depth=1
                                        ;     Child Loop BB11_9 Depth 2
	v_lshl_add_u64 v[10:11], v[20:21], 3, s[4:5]
	v_mov_b64_e32 v[32:33], 0
	v_mov_b64_e32 v[42:43], 0
	s_mov_b32 s11, exec_lo
	global_load_b128 v[10:13], v[10:11], off
	s_wait_loadcnt 0x0
	s_wait_xcnt 0x0
	v_cmpx_lt_i64_e64 v[10:11], v[12:13]
	s_cbranch_execz .LBB11_16
; %bb.7:                                ;   in Loop: Header=BB11_6 Depth=1
	v_add_nc_u64_e32 v[14:15], v[22:23], v[10:11]
	v_sub_nc_u64_e64 v[34:35], v[12:13], s[18:19]
	v_sub_nc_u64_e64 v[36:37], v[10:11], s[18:19]
	v_mov_b64_e32 v[32:33], 0
	v_mov_b64_e32 v[42:43], 0
	s_mov_b32 s15, 0
	v_lshlrev_b64_e32 v[16:17], 6, v[14:15]
	v_lshl_add_u64 v[40:41], v[14:15], 3, s[6:7]
	s_delay_alu instid0(VALU_DEP_2)
	v_add_nc_u64_e32 v[38:39], v[24:25], v[16:17]
	s_branch .LBB11_9
.LBB11_8:                               ;   in Loop: Header=BB11_9 Depth=2
	s_wait_xcnt 0x0
	s_or_b32 exec_lo, exec_lo, s16
	v_add_nc_u64_e32 v[36:37], 8, v[36:37]
	v_add_nc_u64_e32 v[38:39], 0x200, v[38:39]
	;; [unrolled: 1-line block ×3, first 2 shown]
	s_delay_alu instid0(VALU_DEP_3) | instskip(SKIP_1) | instid1(SALU_CYCLE_1)
	v_cmp_ge_i64_e32 vcc_lo, v[36:37], v[34:35]
	s_or_b32 s15, vcc_lo, s15
	s_and_not1_b32 exec_lo, exec_lo, s15
	s_cbranch_execz .LBB11_15
.LBB11_9:                               ;   Parent Loop BB11_6 Depth=1
                                        ; =>  This Inner Loop Header: Depth=2
	v_add_nc_u64_e32 v[10:11], v[18:19], v[36:37]
	s_mov_b32 s16, exec_lo
	s_delay_alu instid0(VALU_DEP_1)
	v_cmpx_ge_i64_e64 v[10:11], v[34:35]
	s_xor_b32 s16, exec_lo, s16
; %bb.10:                               ;   in Loop: Header=BB11_9 Depth=2
	ds_store_b64 v46, v[0:1]
; %bb.11:                               ;   in Loop: Header=BB11_9 Depth=2
	s_or_saveexec_b32 s16, s16
	v_mov_b64_e32 v[10:11], 0
	v_mov_b64_e32 v[12:13], 0
	v_mov_b64_e32 v[14:15], 0
	v_mov_b64_e32 v[16:17], 0
	s_xor_b32 exec_lo, exec_lo, s16
	s_cbranch_execz .LBB11_13
; %bb.12:                               ;   in Loop: Header=BB11_9 Depth=2
	global_load_b64 v[48:49], v[40:41], off
	v_add_nc_u64_e32 v[50:51], s[8:9], v[38:39]
	v_add_nc_u64_e32 v[52:53], s[2:3], v[38:39]
	s_clause 0x2
	global_load_b128 v[10:13], v[38:39], off
	global_load_b64 v[14:15], v[50:51], off
	global_load_b64 v[16:17], v[52:53], off
	s_wait_loadcnt 0x3
	v_sub_nc_u64_e64 v[48:49], v[48:49], s[18:19]
	s_delay_alu instid0(VALU_DEP_1)
	v_lshlrev_b64_e32 v[48:49], 1, v[48:49]
	ds_store_b64 v46, v[48:49]
.LBB11_13:                              ;   in Loop: Header=BB11_9 Depth=2
	s_wait_xcnt 0x0
	s_or_b32 exec_lo, exec_lo, s16
	s_wait_loadcnt 0x2
	ds_store_b128 v47, v[10:13]
	s_wait_loadcnt 0x0
	ds_store_b128 v47, v[14:17] offset:16
	s_wait_dscnt 0x0
	s_barrier_signal -1
	s_barrier_wait -1
	s_and_saveexec_b32 s16, s0
	s_cbranch_execz .LBB11_8
; %bb.14:                               ;   in Loop: Header=BB11_9 Depth=2
	ds_load_b128 v[10:13], v44
	ds_load_b128 v[14:17], v44 offset:16
	s_wait_dscnt 0x1
	v_lshl_add_u64 v[10:11], v[10:11], 4, v[30:31]
	v_lshl_add_u64 v[60:61], v[12:13], 4, v[30:31]
	s_wait_dscnt 0x0
	v_lshl_add_u64 v[14:15], v[14:15], 4, v[30:31]
	s_clause 0x5
	global_load_b128 v[48:51], v[10:11], off
	global_load_b128 v[52:55], v[10:11], off offset:16
	global_load_b128 v[10:13], v[60:61], off
	global_load_b128 v[56:59], v[60:61], off offset:16
	;; [unrolled: 2-line block ×3, first 2 shown]
	ds_load_b128 v[64:67], v45
	ds_load_b128 v[72:75], v45 offset:16
	s_wait_loadcnt_dscnt 0x501
	v_fmac_f64_e32 v[42:43], v[64:65], v[48:49]
	v_fmac_f64_e32 v[32:33], v[66:67], v[48:49]
	s_delay_alu instid0(VALU_DEP_2) | instskip(NEXT) | instid1(VALU_DEP_2)
	v_fma_f64 v[42:43], -v[66:67], v[50:51], v[42:43]
	v_fmac_f64_e32 v[32:33], v[64:65], v[50:51]
	v_lshl_add_u64 v[64:65], v[16:17], 4, v[30:31]
	ds_load_b128 v[48:51], v45 offset:48
	global_load_b128 v[14:17], v[64:65], off
	s_wait_loadcnt_dscnt 0x501
	v_fmac_f64_e32 v[42:43], v[72:73], v[52:53]
	v_fmac_f64_e32 v[32:33], v[74:75], v[52:53]
	s_delay_alu instid0(VALU_DEP_2) | instskip(NEXT) | instid1(VALU_DEP_2)
	v_fma_f64 v[42:43], -v[74:75], v[54:55], v[42:43]
	v_fmac_f64_e32 v[32:33], v[72:73], v[54:55]
	global_load_b128 v[52:55], v[64:65], off offset:16
	s_wait_xcnt 0x0
	ds_load_b128 v[64:67], v45 offset:64
	s_wait_loadcnt_dscnt 0x501
	v_fmac_f64_e32 v[42:43], v[48:49], v[10:11]
	v_fmac_f64_e32 v[32:33], v[50:51], v[10:11]
	s_delay_alu instid0(VALU_DEP_2) | instskip(NEXT) | instid1(VALU_DEP_2)
	v_fma_f64 v[42:43], -v[50:51], v[12:13], v[42:43]
	v_fmac_f64_e32 v[32:33], v[48:49], v[12:13]
	ds_load_b128 v[10:13], v44 offset:32
	ds_load_b128 v[48:51], v44 offset:48
	;; [unrolled: 1-line block ×3, first 2 shown]
	s_wait_dscnt 0x2
	v_lshl_add_u64 v[10:11], v[10:11], 4, v[30:31]
	s_wait_dscnt 0x1
	v_lshl_add_u64 v[48:49], v[48:49], 4, v[30:31]
	global_load_b128 v[72:75], v[10:11], off
	s_wait_loadcnt 0x5
	v_fmac_f64_e32 v[42:43], v[64:65], v[56:57]
	v_fmac_f64_e32 v[32:33], v[66:67], v[56:57]
	s_delay_alu instid0(VALU_DEP_2) | instskip(NEXT) | instid1(VALU_DEP_2)
	v_fma_f64 v[42:43], -v[66:67], v[58:59], v[42:43]
	v_fmac_f64_e32 v[32:33], v[64:65], v[58:59]
	ds_load_b128 v[56:59], v45 offset:96
	global_load_b128 v[64:67], v[10:11], off offset:16
	s_wait_loadcnt_dscnt 0x500
	v_fmac_f64_e32 v[42:43], v[56:57], v[60:61]
	v_fmac_f64_e32 v[32:33], v[58:59], v[60:61]
	v_lshl_add_u64 v[60:61], v[12:13], 4, v[30:31]
	global_load_b128 v[10:13], v[60:61], off
	v_fma_f64 v[42:43], -v[58:59], v[62:63], v[42:43]
	v_fmac_f64_e32 v[32:33], v[56:57], v[62:63]
	ds_load_b128 v[56:59], v45 offset:144
	s_wait_loadcnt 0x5
	v_fmac_f64_e32 v[42:43], v[76:77], v[68:69]
	v_fmac_f64_e32 v[32:33], v[78:79], v[68:69]
	s_delay_alu instid0(VALU_DEP_2) | instskip(NEXT) | instid1(VALU_DEP_2)
	v_fma_f64 v[42:43], -v[78:79], v[70:71], v[42:43]
	v_fmac_f64_e32 v[32:33], v[76:77], v[70:71]
	ds_load_b128 v[68:71], v45 offset:160
	s_wait_loadcnt_dscnt 0x401
	v_fmac_f64_e32 v[42:43], v[56:57], v[14:15]
	v_fmac_f64_e32 v[32:33], v[58:59], v[14:15]
	s_delay_alu instid0(VALU_DEP_2) | instskip(NEXT) | instid1(VALU_DEP_2)
	v_fma_f64 v[42:43], -v[58:59], v[16:17], v[42:43]
	v_fmac_f64_e32 v[32:33], v[56:57], v[16:17]
	s_clause 0x1
	global_load_b128 v[14:17], v[48:49], off
	global_load_b128 v[56:59], v[48:49], off offset:16
	s_wait_loadcnt_dscnt 0x500
	v_fmac_f64_e32 v[42:43], v[68:69], v[52:53]
	v_fmac_f64_e32 v[32:33], v[70:71], v[52:53]
	s_delay_alu instid0(VALU_DEP_2) | instskip(NEXT) | instid1(VALU_DEP_2)
	v_fma_f64 v[42:43], -v[70:71], v[54:55], v[42:43]
	v_fmac_f64_e32 v[32:33], v[68:69], v[54:55]
	ds_load_b128 v[52:55], v45 offset:192
	ds_load_b128 v[68:71], v45 offset:208
	s_wait_loadcnt_dscnt 0x401
	v_fmac_f64_e32 v[42:43], v[52:53], v[72:73]
	v_fmac_f64_e32 v[32:33], v[54:55], v[72:73]
	v_lshl_add_u64 v[72:73], v[50:51], 4, v[30:31]
	s_clause 0x1
	global_load_b128 v[48:51], v[72:73], off
	global_load_b128 v[60:63], v[60:61], off offset:16
	v_fma_f64 v[42:43], -v[54:55], v[74:75], v[42:43]
	v_fmac_f64_e32 v[32:33], v[52:53], v[74:75]
	ds_load_b128 v[52:55], v45 offset:240
	s_wait_loadcnt_dscnt 0x501
	v_fmac_f64_e32 v[42:43], v[68:69], v[64:65]
	v_fmac_f64_e32 v[32:33], v[70:71], v[64:65]
	s_delay_alu instid0(VALU_DEP_2) | instskip(NEXT) | instid1(VALU_DEP_2)
	v_fma_f64 v[42:43], -v[70:71], v[66:67], v[42:43]
	v_fmac_f64_e32 v[32:33], v[68:69], v[66:67]
	global_load_b128 v[64:67], v[72:73], off offset:16
	ds_load_b128 v[68:71], v45 offset:256
	s_wait_loadcnt_dscnt 0x501
	v_fmac_f64_e32 v[42:43], v[52:53], v[10:11]
	v_fmac_f64_e32 v[32:33], v[54:55], v[10:11]
	s_delay_alu instid0(VALU_DEP_2) | instskip(NEXT) | instid1(VALU_DEP_2)
	v_fma_f64 v[10:11], -v[54:55], v[12:13], v[42:43]
	v_fmac_f64_e32 v[32:33], v[52:53], v[12:13]
	s_wait_loadcnt_dscnt 0x100
	s_delay_alu instid0(VALU_DEP_2) | instskip(NEXT) | instid1(VALU_DEP_2)
	v_fmac_f64_e32 v[10:11], v[68:69], v[60:61]
	v_fmac_f64_e32 v[32:33], v[70:71], v[60:61]
	s_delay_alu instid0(VALU_DEP_2) | instskip(NEXT) | instid1(VALU_DEP_2)
	v_fma_f64 v[42:43], -v[70:71], v[62:63], v[10:11]
	v_fmac_f64_e32 v[32:33], v[68:69], v[62:63]
	ds_load_b128 v[10:13], v45 offset:288
	ds_load_b128 v[52:55], v45 offset:304
	s_wait_dscnt 0x1
	v_fmac_f64_e32 v[42:43], v[10:11], v[14:15]
	v_fmac_f64_e32 v[32:33], v[12:13], v[14:15]
	s_delay_alu instid0(VALU_DEP_2) | instskip(NEXT) | instid1(VALU_DEP_2)
	v_fma_f64 v[12:13], -v[12:13], v[16:17], v[42:43]
	v_fmac_f64_e32 v[32:33], v[10:11], v[16:17]
	s_wait_dscnt 0x0
	s_delay_alu instid0(VALU_DEP_2) | instskip(NEXT) | instid1(VALU_DEP_2)
	v_fmac_f64_e32 v[12:13], v[52:53], v[56:57]
	v_fmac_f64_e32 v[32:33], v[54:55], v[56:57]
	s_delay_alu instid0(VALU_DEP_2) | instskip(NEXT) | instid1(VALU_DEP_2)
	v_fma_f64 v[42:43], -v[54:55], v[58:59], v[12:13]
	v_fmac_f64_e32 v[32:33], v[52:53], v[58:59]
	ds_load_b128 v[10:13], v45 offset:336
	ds_load_b128 v[14:17], v45 offset:352
	s_wait_dscnt 0x1
	v_fmac_f64_e32 v[42:43], v[10:11], v[48:49]
	v_fmac_f64_e32 v[32:33], v[12:13], v[48:49]
	s_delay_alu instid0(VALU_DEP_2) | instskip(NEXT) | instid1(VALU_DEP_2)
	v_fma_f64 v[12:13], -v[12:13], v[50:51], v[42:43]
	v_fmac_f64_e32 v[32:33], v[10:11], v[50:51]
	s_wait_loadcnt_dscnt 0x0
	s_delay_alu instid0(VALU_DEP_2) | instskip(NEXT) | instid1(VALU_DEP_2)
	v_fmac_f64_e32 v[12:13], v[14:15], v[64:65]
	v_fmac_f64_e32 v[32:33], v[16:17], v[64:65]
	s_delay_alu instid0(VALU_DEP_2) | instskip(NEXT) | instid1(VALU_DEP_2)
	v_fma_f64 v[42:43], -v[16:17], v[66:67], v[12:13]
	v_fmac_f64_e32 v[32:33], v[14:15], v[66:67]
	s_branch .LBB11_8
.LBB11_15:                              ;   in Loop: Header=BB11_6 Depth=1
	s_or_b32 exec_lo, exec_lo, s15
.LBB11_16:                              ;   in Loop: Header=BB11_6 Depth=1
	s_delay_alu instid0(SALU_CYCLE_1)
	s_or_b32 exec_lo, exec_lo, s11
	s_and_saveexec_b32 s11, s0
	s_cbranch_execz .LBB11_5
; %bb.17:                               ;   in Loop: Header=BB11_6 Depth=1
	v_mul_f64_e64 v[10:11], v[32:33], -v[4:5]
	v_mul_f64_e32 v[12:13], v[2:3], v[32:33]
	s_delay_alu instid0(VALU_DEP_2) | instskip(NEXT) | instid1(VALU_DEP_2)
	v_fmac_f64_e32 v[10:11], v[2:3], v[42:43]
	v_fmac_f64_e32 v[12:13], v[4:5], v[42:43]
	s_and_saveexec_b32 s15, s1
	s_delay_alu instid0(SALU_CYCLE_1)
	s_xor_b32 s15, exec_lo, s15
	s_cbranch_execz .LBB11_22
; %bb.18:                               ;   in Loop: Header=BB11_6 Depth=1
	s_and_b32 vcc_lo, exec_lo, s14
	s_mov_b32 s16, -1
	s_cbranch_vccz .LBB11_20
; %bb.19:                               ;   in Loop: Header=BB11_6 Depth=1
	global_load_b128 v[14:17], v[26:27], off
	s_mov_b32 s16, 0
	s_wait_loadcnt 0x0
	v_fma_f64 v[32:33], v[6:7], v[14:15], v[10:11]
	v_fma_f64 v[34:35], v[8:9], v[14:15], v[12:13]
	s_delay_alu instid0(VALU_DEP_2) | instskip(NEXT) | instid1(VALU_DEP_2)
	v_fma_f64 v[32:33], -v[8:9], v[16:17], v[32:33]
	v_fmac_f64_e32 v[34:35], v[6:7], v[16:17]
	global_store_b128 v[26:27], v[32:35], off
.LBB11_20:                              ;   in Loop: Header=BB11_6 Depth=1
	s_and_not1_b32 vcc_lo, exec_lo, s16
	s_cbranch_vccnz .LBB11_22
; %bb.21:                               ;   in Loop: Header=BB11_6 Depth=1
	global_load_b128 v[14:17], v[28:29], off
	s_wait_loadcnt 0x0
	v_fmac_f64_e32 v[10:11], v[6:7], v[14:15]
	v_fmac_f64_e32 v[12:13], v[8:9], v[14:15]
	s_delay_alu instid0(VALU_DEP_2) | instskip(NEXT) | instid1(VALU_DEP_2)
	v_fma_f64 v[10:11], -v[8:9], v[16:17], v[10:11]
	v_fmac_f64_e32 v[12:13], v[6:7], v[16:17]
	global_store_b128 v[28:29], v[10:13], off
                                        ; implicit-def: $vgpr10_vgpr11
.LBB11_22:                              ;   in Loop: Header=BB11_6 Depth=1
	s_wait_xcnt 0x0
	s_and_not1_saveexec_b32 s15, s15
	s_cbranch_execz .LBB11_5
; %bb.23:                               ;   in Loop: Header=BB11_6 Depth=1
	s_and_b32 vcc_lo, exec_lo, s14
	s_mov_b32 s15, -1
	s_cbranch_vccz .LBB11_25
; %bb.24:                               ;   in Loop: Header=BB11_6 Depth=1
	s_mov_b32 s15, 0
	global_store_b128 v[26:27], v[10:13], off
.LBB11_25:                              ;   in Loop: Header=BB11_6 Depth=1
	s_and_not1_b32 vcc_lo, exec_lo, s15
	s_cbranch_vccnz .LBB11_5
; %bb.26:                               ;   in Loop: Header=BB11_6 Depth=1
	global_store_b128 v[28:29], v[10:13], off
	s_branch .LBB11_5
.LBB11_27:
	s_sendmsg sendmsg(MSG_DEALLOC_VGPRS)
	s_endpgm
	.section	.rodata,"a",@progbits
	.p2align	6, 0x0
	.amdhsa_kernel _ZN9rocsparseL29bsrmmnn_small_blockdim_kernelILj64ELj8ELj2Ell21rocsparse_complex_numIdES2_S2_S2_EEv20rocsparse_direction_T3_S4_llNS_24const_host_device_scalarIT7_EEPKT2_PKS4_PKT4_PKT5_llS7_PT6_ll16rocsparse_order_21rocsparse_index_base_b
		.amdhsa_group_segment_fixed_size 3584
		.amdhsa_private_segment_fixed_size 0
		.amdhsa_kernarg_size 416
		.amdhsa_user_sgpr_count 2
		.amdhsa_user_sgpr_dispatch_ptr 0
		.amdhsa_user_sgpr_queue_ptr 0
		.amdhsa_user_sgpr_kernarg_segment_ptr 1
		.amdhsa_user_sgpr_dispatch_id 0
		.amdhsa_user_sgpr_kernarg_preload_length 0
		.amdhsa_user_sgpr_kernarg_preload_offset 0
		.amdhsa_user_sgpr_private_segment_size 0
		.amdhsa_wavefront_size32 1
		.amdhsa_uses_dynamic_stack 0
		.amdhsa_enable_private_segment 0
		.amdhsa_system_sgpr_workgroup_id_x 1
		.amdhsa_system_sgpr_workgroup_id_y 1
		.amdhsa_system_sgpr_workgroup_id_z 0
		.amdhsa_system_sgpr_workgroup_info 0
		.amdhsa_system_vgpr_workitem_id 0
		.amdhsa_next_free_vgpr 80
		.amdhsa_next_free_sgpr 28
		.amdhsa_named_barrier_count 0
		.amdhsa_reserve_vcc 1
		.amdhsa_float_round_mode_32 0
		.amdhsa_float_round_mode_16_64 0
		.amdhsa_float_denorm_mode_32 3
		.amdhsa_float_denorm_mode_16_64 3
		.amdhsa_fp16_overflow 0
		.amdhsa_memory_ordered 1
		.amdhsa_forward_progress 1
		.amdhsa_inst_pref_size 18
		.amdhsa_round_robin_scheduling 0
		.amdhsa_exception_fp_ieee_invalid_op 0
		.amdhsa_exception_fp_denorm_src 0
		.amdhsa_exception_fp_ieee_div_zero 0
		.amdhsa_exception_fp_ieee_overflow 0
		.amdhsa_exception_fp_ieee_underflow 0
		.amdhsa_exception_fp_ieee_inexact 0
		.amdhsa_exception_int_div_zero 0
	.end_amdhsa_kernel
	.section	.text._ZN9rocsparseL29bsrmmnn_small_blockdim_kernelILj64ELj8ELj2Ell21rocsparse_complex_numIdES2_S2_S2_EEv20rocsparse_direction_T3_S4_llNS_24const_host_device_scalarIT7_EEPKT2_PKS4_PKT4_PKT5_llS7_PT6_ll16rocsparse_order_21rocsparse_index_base_b,"axG",@progbits,_ZN9rocsparseL29bsrmmnn_small_blockdim_kernelILj64ELj8ELj2Ell21rocsparse_complex_numIdES2_S2_S2_EEv20rocsparse_direction_T3_S4_llNS_24const_host_device_scalarIT7_EEPKT2_PKS4_PKT4_PKT5_llS7_PT6_ll16rocsparse_order_21rocsparse_index_base_b,comdat
.Lfunc_end11:
	.size	_ZN9rocsparseL29bsrmmnn_small_blockdim_kernelILj64ELj8ELj2Ell21rocsparse_complex_numIdES2_S2_S2_EEv20rocsparse_direction_T3_S4_llNS_24const_host_device_scalarIT7_EEPKT2_PKS4_PKT4_PKT5_llS7_PT6_ll16rocsparse_order_21rocsparse_index_base_b, .Lfunc_end11-_ZN9rocsparseL29bsrmmnn_small_blockdim_kernelILj64ELj8ELj2Ell21rocsparse_complex_numIdES2_S2_S2_EEv20rocsparse_direction_T3_S4_llNS_24const_host_device_scalarIT7_EEPKT2_PKS4_PKT4_PKT5_llS7_PT6_ll16rocsparse_order_21rocsparse_index_base_b
                                        ; -- End function
	.set _ZN9rocsparseL29bsrmmnn_small_blockdim_kernelILj64ELj8ELj2Ell21rocsparse_complex_numIdES2_S2_S2_EEv20rocsparse_direction_T3_S4_llNS_24const_host_device_scalarIT7_EEPKT2_PKS4_PKT4_PKT5_llS7_PT6_ll16rocsparse_order_21rocsparse_index_base_b.num_vgpr, 80
	.set _ZN9rocsparseL29bsrmmnn_small_blockdim_kernelILj64ELj8ELj2Ell21rocsparse_complex_numIdES2_S2_S2_EEv20rocsparse_direction_T3_S4_llNS_24const_host_device_scalarIT7_EEPKT2_PKS4_PKT4_PKT5_llS7_PT6_ll16rocsparse_order_21rocsparse_index_base_b.num_agpr, 0
	.set _ZN9rocsparseL29bsrmmnn_small_blockdim_kernelILj64ELj8ELj2Ell21rocsparse_complex_numIdES2_S2_S2_EEv20rocsparse_direction_T3_S4_llNS_24const_host_device_scalarIT7_EEPKT2_PKS4_PKT4_PKT5_llS7_PT6_ll16rocsparse_order_21rocsparse_index_base_b.numbered_sgpr, 28
	.set _ZN9rocsparseL29bsrmmnn_small_blockdim_kernelILj64ELj8ELj2Ell21rocsparse_complex_numIdES2_S2_S2_EEv20rocsparse_direction_T3_S4_llNS_24const_host_device_scalarIT7_EEPKT2_PKS4_PKT4_PKT5_llS7_PT6_ll16rocsparse_order_21rocsparse_index_base_b.num_named_barrier, 0
	.set _ZN9rocsparseL29bsrmmnn_small_blockdim_kernelILj64ELj8ELj2Ell21rocsparse_complex_numIdES2_S2_S2_EEv20rocsparse_direction_T3_S4_llNS_24const_host_device_scalarIT7_EEPKT2_PKS4_PKT4_PKT5_llS7_PT6_ll16rocsparse_order_21rocsparse_index_base_b.private_seg_size, 0
	.set _ZN9rocsparseL29bsrmmnn_small_blockdim_kernelILj64ELj8ELj2Ell21rocsparse_complex_numIdES2_S2_S2_EEv20rocsparse_direction_T3_S4_llNS_24const_host_device_scalarIT7_EEPKT2_PKS4_PKT4_PKT5_llS7_PT6_ll16rocsparse_order_21rocsparse_index_base_b.uses_vcc, 1
	.set _ZN9rocsparseL29bsrmmnn_small_blockdim_kernelILj64ELj8ELj2Ell21rocsparse_complex_numIdES2_S2_S2_EEv20rocsparse_direction_T3_S4_llNS_24const_host_device_scalarIT7_EEPKT2_PKS4_PKT4_PKT5_llS7_PT6_ll16rocsparse_order_21rocsparse_index_base_b.uses_flat_scratch, 0
	.set _ZN9rocsparseL29bsrmmnn_small_blockdim_kernelILj64ELj8ELj2Ell21rocsparse_complex_numIdES2_S2_S2_EEv20rocsparse_direction_T3_S4_llNS_24const_host_device_scalarIT7_EEPKT2_PKS4_PKT4_PKT5_llS7_PT6_ll16rocsparse_order_21rocsparse_index_base_b.has_dyn_sized_stack, 0
	.set _ZN9rocsparseL29bsrmmnn_small_blockdim_kernelILj64ELj8ELj2Ell21rocsparse_complex_numIdES2_S2_S2_EEv20rocsparse_direction_T3_S4_llNS_24const_host_device_scalarIT7_EEPKT2_PKS4_PKT4_PKT5_llS7_PT6_ll16rocsparse_order_21rocsparse_index_base_b.has_recursion, 0
	.set _ZN9rocsparseL29bsrmmnn_small_blockdim_kernelILj64ELj8ELj2Ell21rocsparse_complex_numIdES2_S2_S2_EEv20rocsparse_direction_T3_S4_llNS_24const_host_device_scalarIT7_EEPKT2_PKS4_PKT4_PKT5_llS7_PT6_ll16rocsparse_order_21rocsparse_index_base_b.has_indirect_call, 0
	.section	.AMDGPU.csdata,"",@progbits
; Kernel info:
; codeLenInByte = 2208
; TotalNumSgprs: 30
; NumVgprs: 80
; ScratchSize: 0
; MemoryBound: 0
; FloatMode: 240
; IeeeMode: 1
; LDSByteSize: 3584 bytes/workgroup (compile time only)
; SGPRBlocks: 0
; VGPRBlocks: 4
; NumSGPRsForWavesPerEU: 30
; NumVGPRsForWavesPerEU: 80
; NamedBarCnt: 0
; Occupancy: 12
; WaveLimiterHint : 1
; COMPUTE_PGM_RSRC2:SCRATCH_EN: 0
; COMPUTE_PGM_RSRC2:USER_SGPR: 2
; COMPUTE_PGM_RSRC2:TRAP_HANDLER: 0
; COMPUTE_PGM_RSRC2:TGID_X_EN: 1
; COMPUTE_PGM_RSRC2:TGID_Y_EN: 1
; COMPUTE_PGM_RSRC2:TGID_Z_EN: 0
; COMPUTE_PGM_RSRC2:TIDIG_COMP_CNT: 0
	.section	.text._ZN9rocsparseL29bsrmmnn_small_blockdim_kernelILj64ELj8ELj2EiiDF16_DF16_ffEEv20rocsparse_direction_T3_S2_llNS_24const_host_device_scalarIT7_EEPKT2_PKS2_PKT4_PKT5_llS5_PT6_ll16rocsparse_order_21rocsparse_index_base_b,"axG",@progbits,_ZN9rocsparseL29bsrmmnn_small_blockdim_kernelILj64ELj8ELj2EiiDF16_DF16_ffEEv20rocsparse_direction_T3_S2_llNS_24const_host_device_scalarIT7_EEPKT2_PKS2_PKT4_PKT5_llS5_PT6_ll16rocsparse_order_21rocsparse_index_base_b,comdat
	.globl	_ZN9rocsparseL29bsrmmnn_small_blockdim_kernelILj64ELj8ELj2EiiDF16_DF16_ffEEv20rocsparse_direction_T3_S2_llNS_24const_host_device_scalarIT7_EEPKT2_PKS2_PKT4_PKT5_llS5_PT6_ll16rocsparse_order_21rocsparse_index_base_b ; -- Begin function _ZN9rocsparseL29bsrmmnn_small_blockdim_kernelILj64ELj8ELj2EiiDF16_DF16_ffEEv20rocsparse_direction_T3_S2_llNS_24const_host_device_scalarIT7_EEPKT2_PKS2_PKT4_PKT5_llS5_PT6_ll16rocsparse_order_21rocsparse_index_base_b
	.p2align	8
	.type	_ZN9rocsparseL29bsrmmnn_small_blockdim_kernelILj64ELj8ELj2EiiDF16_DF16_ffEEv20rocsparse_direction_T3_S2_llNS_24const_host_device_scalarIT7_EEPKT2_PKS2_PKT4_PKT5_llS5_PT6_ll16rocsparse_order_21rocsparse_index_base_b,@function
_ZN9rocsparseL29bsrmmnn_small_blockdim_kernelILj64ELj8ELj2EiiDF16_DF16_ffEEv20rocsparse_direction_T3_S2_llNS_24const_host_device_scalarIT7_EEPKT2_PKS2_PKT4_PKT5_llS5_PT6_ll16rocsparse_order_21rocsparse_index_base_b: ; @_ZN9rocsparseL29bsrmmnn_small_blockdim_kernelILj64ELj8ELj2EiiDF16_DF16_ffEEv20rocsparse_direction_T3_S2_llNS_24const_host_device_scalarIT7_EEPKT2_PKS2_PKT4_PKT5_llS5_PT6_ll16rocsparse_order_21rocsparse_index_base_b
; %bb.0:
	s_clause 0x2
	s_load_b96 s[16:18], s[0:1], 0x78
	s_load_b64 s[2:3], s[0:1], 0x20
	s_load_b64 s[24:25], s[0:1], 0x58
	s_wait_kmcnt 0x0
	s_bitcmp1_b32 s18, 0
	s_cselect_b32 s4, -1, 0
	s_delay_alu instid0(SALU_CYCLE_1)
	s_and_b32 vcc_lo, exec_lo, s4
	s_xor_b32 s4, s4, -1
	s_cbranch_vccnz .LBB12_2
; %bb.1:
	s_load_b32 s2, s[2:3], 0x0
.LBB12_2:
	s_and_not1_b32 vcc_lo, exec_lo, s4
	s_cbranch_vccnz .LBB12_4
; %bb.3:
	s_load_b32 s24, s[24:25], 0x0
.LBB12_4:
	s_wait_kmcnt 0x0
	s_cmp_eq_f32 s2, 0
	s_mov_b32 s5, 0
	s_cselect_b32 s3, -1, 0
	s_cmp_eq_f32 s24, 1.0
	s_cselect_b32 s4, -1, 0
	s_delay_alu instid0(SALU_CYCLE_1) | instskip(NEXT) | instid1(SALU_CYCLE_1)
	s_and_b32 s3, s3, s4
	s_and_b32 vcc_lo, exec_lo, s3
	s_cbranch_vccnz .LBB12_28
; %bb.5:
	s_load_b32 s3, s[0:1], 0x88
	s_bfe_u32 s4, ttmp6, 0x4000c
	s_and_b32 s7, ttmp6, 15
	s_add_co_i32 s4, s4, 1
	s_getreg_b32 s6, hwreg(HW_REG_IB_STS2, 6, 4)
	s_mul_i32 s4, ttmp9, s4
	s_add_nc_u64 s[8:9], s[0:1], 0x88
	s_add_co_i32 s7, s7, s4
	s_cmp_eq_u32 s6, 0
	s_cselect_b32 s7, ttmp9, s7
	s_wait_kmcnt 0x0
	s_cmp_lt_u32 s7, s3
	s_cselect_b32 s4, 12, 18
	s_delay_alu instid0(SALU_CYCLE_1)
	s_add_nc_u64 s[8:9], s[8:9], s[4:5]
	s_mov_b32 s5, exec_lo
	s_load_u16 s4, s[8:9], 0x0
	s_load_b96 s[20:22], s[0:1], 0x0
	s_wait_kmcnt 0x0
	v_mad_u32 v1, s7, s4, v0
	s_delay_alu instid0(VALU_DEP_1) | instskip(NEXT) | instid1(VALU_DEP_1)
	v_lshrrev_b32_e32 v2, 4, v1
	v_cmpx_gt_i32_e64 s21, v2
	s_cbranch_execz .LBB12_28
; %bb.6:
	s_bfe_u32 s5, ttmp6, 0x40010
	s_load_b128 s[12:15], s[0:1], 0x60
	s_add_co_i32 s5, s5, 1
	s_mul_i32 s3, s3, s4
	s_mul_i32 s7, ttmp7, s5
	s_bfe_u32 s8, ttmp6, 0x40004
	v_dual_mov_b32 v3, 0 :: v_dual_bitop2_b32 v10, 7, v1 bitop3:0x40
	s_lshr_b32 s3, s3, 4
	s_add_co_i32 s8, s8, s7
	s_cmp_eq_u32 s6, 0
	s_load_b64 s[4:5], s[0:1], 0x48
	s_cselect_b32 s6, ttmp7, s8
	v_dual_mov_b32 v7, v3 :: v_dual_lshrrev_b32 v0, 3, v0
	v_lshl_or_b32 v4, s6, 3, v10
	v_lshrrev_b32_e32 v6, 3, v1
	v_bfe_u32 v14, v1, 3, 1
	v_mul_u32_u24_e32 v20, 6, v10
	v_lshl_add_u32 v11, v0, 5, 0x180
	v_ashrrev_i32_e32 v5, 31, v4
	s_wait_kmcnt 0x0
	v_mul_u64_e32 v[16:17], s[14:15], v[6:7]
	v_dual_lshlrev_b32 v21, 1, v14 :: v_dual_bitop2_b32 v15, 2, v14 bitop3:0x54
	v_lshlrev_b32_e32 v6, 2, v6
	v_mul_u64_e32 v[8:9], s[14:15], v[4:5]
	v_mul_u32_u24_e32 v12, 48, v0
	s_cmp_eq_u32 s20, 0
	v_or_b32_e32 v22, 1, v21
	v_lshl_add_u64 v[0:1], v[4:5], 2, s[12:13]
	s_cselect_b32 vcc_lo, -1, 0
	v_mul_u64_e32 v[18:19], s[4:5], v[4:5]
	s_load_b256 s[4:11], s[0:1], 0x28
	s_cmp_neq_f32 s24, 0
	v_lshl_or_b32 v13, v10, 2, v11
	v_dual_cndmask_b32 v14, v14, v21 :: v_dual_cndmask_b32 v15, v15, v22
	s_wait_xcnt 0x0
	v_cmp_gt_i32_e64 s0, s22, v4
	s_cselect_b32 s1, -1, 0
	s_cmp_lg_u32 s16, 1
	v_lshl_add_u64 v[0:1], v[16:17], 2, v[0:1]
	v_subrev_nc_u32_e32 v16, s17, v10
	v_add_nc_u32_e32 v17, v12, v20
	v_lshl_add_u64 v[8:9], v[8:9], 2, s[12:13]
	s_delay_alu instid0(VALU_DEP_1)
	v_add_nc_u64_e32 v[6:7], v[8:9], v[6:7]
	s_wait_kmcnt 0x0
	v_lshl_add_u64 v[4:5], v[18:19], 1, s[10:11]
	s_mov_b32 s10, 0
	s_cselect_b32 s11, -1, 0
	s_branch .LBB12_8
.LBB12_7:                               ;   in Loop: Header=BB12_8 Depth=1
	s_wait_xcnt 0x0
	s_or_b32 exec_lo, exec_lo, s12
	v_add_nc_u32_e32 v2, s3, v2
	s_delay_alu instid0(VALU_DEP_1) | instskip(SKIP_1) | instid1(SALU_CYCLE_1)
	v_cmp_le_i32_e32 vcc_lo, s21, v2
	s_or_b32 s10, vcc_lo, s10
	s_and_not1_b32 exec_lo, exec_lo, s10
	s_cbranch_execz .LBB12_28
.LBB12_8:                               ; =>This Loop Header: Depth=1
                                        ;     Child Loop BB12_11 Depth 2
	v_lshl_add_u64 v[8:9], v[2:3], 2, s[4:5]
	v_mov_b32_e32 v20, 0
	s_mov_b32 s12, exec_lo
	global_load_b64 v[8:9], v[8:9], off
	s_wait_loadcnt 0x0
	s_wait_xcnt 0x0
	v_cmpx_lt_i32_e64 v8, v9
	s_cbranch_execz .LBB12_16
; %bb.9:                                ;   in Loop: Header=BB12_8 Depth=1
	v_add_lshl_u32 v19, v16, v8, 2
	v_subrev_nc_u32_e32 v9, s17, v9
	v_subrev_nc_u32_e32 v8, s17, v8
	s_mov_b32 s13, 0
	s_delay_alu instid0(VALU_DEP_3)
	v_dual_mov_b32 v20, 0 :: v_dual_bitop2_b32 v18, v15, v19 bitop3:0x54
	v_or_b32_e32 v19, v14, v19
	s_branch .LBB12_11
.LBB12_10:                              ;   in Loop: Header=BB12_11 Depth=2
	s_or_b32 exec_lo, exec_lo, s14
	v_dual_add_nc_u32 v8, 8, v8 :: v_dual_add_nc_u32 v18, 32, v18
	v_add_nc_u32_e32 v19, 32, v19
	s_delay_alu instid0(VALU_DEP_2) | instskip(SKIP_1) | instid1(SALU_CYCLE_1)
	v_cmp_ge_i32_e32 vcc_lo, v8, v9
	s_or_b32 s13, vcc_lo, s13
	s_and_not1_b32 exec_lo, exec_lo, s13
	s_cbranch_execz .LBB12_15
.LBB12_11:                              ;   Parent Loop BB12_8 Depth=1
                                        ; =>  This Inner Loop Header: Depth=2
	v_dual_mov_b32 v23, 0 :: v_dual_add_nc_u32 v24, v10, v8
	v_dual_mov_b32 v21, 0 :: v_dual_mov_b32 v22, 0
	s_mov_b32 s14, exec_lo
	s_delay_alu instid0(VALU_DEP_2)
	v_cmpx_lt_i32_e64 v24, v9
	s_cbranch_execz .LBB12_13
; %bb.12:                               ;   in Loop: Header=BB12_11 Depth=2
	global_load_b32 v23, v24, s[6:7] scale_offset
	s_clause 0x1
	global_load_u16 v21, v19, s[8:9] scale_offset
	global_load_u16 v22, v18, s[8:9] scale_offset
	s_wait_loadcnt 0x2
	v_subrev_nc_u32_e32 v23, s17, v23
	s_delay_alu instid0(VALU_DEP_1)
	v_lshlrev_b32_e32 v23, 1, v23
.LBB12_13:                              ;   in Loop: Header=BB12_11 Depth=2
	s_wait_xcnt 0x0
	s_or_b32 exec_lo, exec_lo, s14
	ds_store_b32 v13, v23
	s_wait_loadcnt 0x1
	ds_store_b16 v17, v21
	s_wait_loadcnt 0x0
	ds_store_b16 v17, v22 offset:2
	s_wait_dscnt 0x0
	s_barrier_signal -1
	s_barrier_wait -1
	s_and_saveexec_b32 s14, s0
	s_cbranch_execz .LBB12_10
; %bb.14:                               ;   in Loop: Header=BB12_11 Depth=2
	ds_load_b128 v[22:25], v11
	ds_load_b128 v[26:29], v11 offset:16
	s_wait_dscnt 0x1
	v_dual_mov_b32 v30, v22 :: v_dual_ashrrev_i32 v31, 31, v22
	s_delay_alu instid0(VALU_DEP_1) | instskip(SKIP_3) | instid1(VALU_DEP_1)
	v_lshl_add_u64 v[30:31], v[30:31], 1, v[4:5]
	global_load_b32 v21, v[30:31], off
	s_wait_xcnt 0x0
	v_dual_mov_b32 v30, v23 :: v_dual_ashrrev_i32 v31, 31, v23
	v_lshl_add_u64 v[22:23], v[30:31], 1, v[4:5]
	v_dual_mov_b32 v30, v24 :: v_dual_ashrrev_i32 v31, 31, v24
	s_wait_dscnt 0x0
	v_mov_b32_e32 v24, v26
	global_load_b32 v32, v[22:23], off
	s_wait_xcnt 0x0
	v_lshl_add_u64 v[22:23], v[30:31], 1, v[4:5]
	v_dual_mov_b32 v30, v25 :: v_dual_ashrrev_i32 v31, 31, v25
	v_ashrrev_i32_e32 v25, 31, v26
	global_load_b32 v33, v[22:23], off
	s_wait_xcnt 0x0
	v_lshl_add_u64 v[22:23], v[30:31], 1, v[4:5]
	global_load_b32 v26, v[22:23], off
	s_wait_xcnt 0x0
	v_lshl_add_u64 v[22:23], v[24:25], 1, v[4:5]
	v_dual_mov_b32 v24, v27 :: v_dual_ashrrev_i32 v25, 31, v27
	global_load_b32 v27, v[22:23], off
	s_wait_xcnt 0x0
	v_lshl_add_u64 v[22:23], v[24:25], 1, v[4:5]
	v_dual_mov_b32 v24, v28 :: v_dual_ashrrev_i32 v25, 31, v28
	;; [unrolled: 4-line block ×3, first 2 shown]
	global_load_b32 v29, v[22:23], off
	s_wait_xcnt 0x0
	v_lshl_add_u64 v[22:23], v[24:25], 1, v[4:5]
	global_load_b32 v24, v[22:23], off
	s_wait_xcnt 0x0
	ds_load_2addr_b32 v[22:23], v12 offset1:3
	ds_load_u16 v25, v12 offset:6
	ds_load_u16 v30, v12 offset:8
	s_wait_loadcnt_dscnt 0x702
	v_fma_mix_f32 v20, v22, v21, v20 op_sel_hi:[1,1,0]
	s_delay_alu instid0(VALU_DEP_1)
	v_fma_mix_f32 v20, v22, v21, v20 op_sel:[1,1,0] op_sel_hi:[1,1,0]
	ds_load_u16 v22, v12 offset:18
	ds_load_u16 v31, v12 offset:20
	ds_load_u16 v34, v12 offset:30
	ds_load_u16 v35, v12 offset:32
	ds_load_u16 v36, v12 offset:42
	ds_load_u16 v37, v12 offset:44
	s_wait_loadcnt_dscnt 0x607
	v_fma_mix_f32 v20, v25, v32, v20 op_sel_hi:[1,1,0]
	s_wait_dscnt 0x6
	s_delay_alu instid0(VALU_DEP_1) | instskip(SKIP_3) | instid1(VALU_DEP_1)
	v_fma_mix_f32 v25, v30, v32, v20 op_sel:[0,1,0] op_sel_hi:[1,1,0]
	ds_load_2addr_b32 v[20:21], v12 offset0:6 offset1:9
	s_wait_loadcnt 0x5
	v_fma_mix_f32 v25, v23, v33, v25 op_sel_hi:[1,1,0]
	v_fma_mix_f32 v23, v23, v33, v25 op_sel:[1,1,0] op_sel_hi:[1,1,0]
	s_wait_loadcnt_dscnt 0x406
	s_delay_alu instid0(VALU_DEP_1) | instskip(SKIP_1) | instid1(VALU_DEP_1)
	v_fma_mix_f32 v22, v22, v26, v23 op_sel_hi:[1,1,0]
	s_wait_dscnt 0x5
	v_fma_mix_f32 v22, v31, v26, v22 op_sel:[0,1,0] op_sel_hi:[1,1,0]
	s_wait_loadcnt_dscnt 0x300
	s_delay_alu instid0(VALU_DEP_1) | instskip(NEXT) | instid1(VALU_DEP_1)
	v_fma_mix_f32 v22, v20, v27, v22 op_sel_hi:[1,1,0]
	v_fma_mix_f32 v20, v20, v27, v22 op_sel:[1,1,0] op_sel_hi:[1,1,0]
	s_wait_loadcnt 0x2
	s_delay_alu instid0(VALU_DEP_1) | instskip(NEXT) | instid1(VALU_DEP_1)
	v_fma_mix_f32 v20, v34, v28, v20 op_sel_hi:[1,1,0]
	v_fma_mix_f32 v20, v35, v28, v20 op_sel:[0,1,0] op_sel_hi:[1,1,0]
	s_wait_loadcnt 0x1
	;; [unrolled: 4-line block ×3, first 2 shown]
	s_delay_alu instid0(VALU_DEP_1) | instskip(NEXT) | instid1(VALU_DEP_1)
	v_fma_mix_f32 v20, v36, v24, v20 op_sel_hi:[1,1,0]
	v_fma_mix_f32 v20, v37, v24, v20 op_sel:[0,1,0] op_sel_hi:[1,1,0]
	s_branch .LBB12_10
.LBB12_15:                              ;   in Loop: Header=BB12_8 Depth=1
	s_or_b32 exec_lo, exec_lo, s13
.LBB12_16:                              ;   in Loop: Header=BB12_8 Depth=1
	s_delay_alu instid0(SALU_CYCLE_1)
	s_or_b32 exec_lo, exec_lo, s12
	s_and_saveexec_b32 s12, s0
	s_cbranch_execz .LBB12_7
; %bb.17:                               ;   in Loop: Header=BB12_8 Depth=1
	v_mul_f32_e32 v8, s2, v20
	s_and_b32 vcc_lo, exec_lo, s1
	s_cbranch_vccz .LBB12_23
; %bb.18:                               ;   in Loop: Header=BB12_8 Depth=1
	s_and_b32 vcc_lo, exec_lo, s11
	s_mov_b32 s13, -1
	s_cbranch_vccz .LBB12_20
; %bb.19:                               ;   in Loop: Header=BB12_8 Depth=1
	global_load_b32 v9, v[0:1], off
	s_mov_b32 s13, 0
	s_wait_loadcnt 0x0
	v_fma_f32 v9, s24, v9, v8
	global_store_b32 v[0:1], v9, off
.LBB12_20:                              ;   in Loop: Header=BB12_8 Depth=1
	s_and_not1_b32 vcc_lo, exec_lo, s13
	s_cbranch_vccnz .LBB12_22
; %bb.21:                               ;   in Loop: Header=BB12_8 Depth=1
	global_load_b32 v9, v[6:7], off
	s_wait_loadcnt 0x0
	v_fma_f32 v9, s24, v9, v8
	global_store_b32 v[6:7], v9, off
.LBB12_22:                              ;   in Loop: Header=BB12_8 Depth=1
	s_cbranch_execnz .LBB12_7
	s_branch .LBB12_24
.LBB12_23:                              ;   in Loop: Header=BB12_8 Depth=1
.LBB12_24:                              ;   in Loop: Header=BB12_8 Depth=1
	s_and_b32 vcc_lo, exec_lo, s11
	s_mov_b32 s13, -1
	s_cbranch_vccz .LBB12_26
; %bb.25:                               ;   in Loop: Header=BB12_8 Depth=1
	s_mov_b32 s13, 0
	global_store_b32 v[0:1], v8, off
.LBB12_26:                              ;   in Loop: Header=BB12_8 Depth=1
	s_and_not1_b32 vcc_lo, exec_lo, s13
	s_cbranch_vccnz .LBB12_7
; %bb.27:                               ;   in Loop: Header=BB12_8 Depth=1
	global_store_b32 v[6:7], v8, off
	s_branch .LBB12_7
.LBB12_28:
	s_endpgm
	.section	.rodata,"a",@progbits
	.p2align	6, 0x0
	.amdhsa_kernel _ZN9rocsparseL29bsrmmnn_small_blockdim_kernelILj64ELj8ELj2EiiDF16_DF16_ffEEv20rocsparse_direction_T3_S2_llNS_24const_host_device_scalarIT7_EEPKT2_PKS2_PKT4_PKT5_llS5_PT6_ll16rocsparse_order_21rocsparse_index_base_b
		.amdhsa_group_segment_fixed_size 640
		.amdhsa_private_segment_fixed_size 0
		.amdhsa_kernarg_size 392
		.amdhsa_user_sgpr_count 2
		.amdhsa_user_sgpr_dispatch_ptr 0
		.amdhsa_user_sgpr_queue_ptr 0
		.amdhsa_user_sgpr_kernarg_segment_ptr 1
		.amdhsa_user_sgpr_dispatch_id 0
		.amdhsa_user_sgpr_kernarg_preload_length 0
		.amdhsa_user_sgpr_kernarg_preload_offset 0
		.amdhsa_user_sgpr_private_segment_size 0
		.amdhsa_wavefront_size32 1
		.amdhsa_uses_dynamic_stack 0
		.amdhsa_enable_private_segment 0
		.amdhsa_system_sgpr_workgroup_id_x 1
		.amdhsa_system_sgpr_workgroup_id_y 1
		.amdhsa_system_sgpr_workgroup_id_z 0
		.amdhsa_system_sgpr_workgroup_info 0
		.amdhsa_system_vgpr_workitem_id 0
		.amdhsa_next_free_vgpr 38
		.amdhsa_next_free_sgpr 26
		.amdhsa_named_barrier_count 0
		.amdhsa_reserve_vcc 1
		.amdhsa_float_round_mode_32 0
		.amdhsa_float_round_mode_16_64 0
		.amdhsa_float_denorm_mode_32 3
		.amdhsa_float_denorm_mode_16_64 3
		.amdhsa_fp16_overflow 0
		.amdhsa_memory_ordered 1
		.amdhsa_forward_progress 1
		.amdhsa_inst_pref_size 13
		.amdhsa_round_robin_scheduling 0
		.amdhsa_exception_fp_ieee_invalid_op 0
		.amdhsa_exception_fp_denorm_src 0
		.amdhsa_exception_fp_ieee_div_zero 0
		.amdhsa_exception_fp_ieee_overflow 0
		.amdhsa_exception_fp_ieee_underflow 0
		.amdhsa_exception_fp_ieee_inexact 0
		.amdhsa_exception_int_div_zero 0
	.end_amdhsa_kernel
	.section	.text._ZN9rocsparseL29bsrmmnn_small_blockdim_kernelILj64ELj8ELj2EiiDF16_DF16_ffEEv20rocsparse_direction_T3_S2_llNS_24const_host_device_scalarIT7_EEPKT2_PKS2_PKT4_PKT5_llS5_PT6_ll16rocsparse_order_21rocsparse_index_base_b,"axG",@progbits,_ZN9rocsparseL29bsrmmnn_small_blockdim_kernelILj64ELj8ELj2EiiDF16_DF16_ffEEv20rocsparse_direction_T3_S2_llNS_24const_host_device_scalarIT7_EEPKT2_PKS2_PKT4_PKT5_llS5_PT6_ll16rocsparse_order_21rocsparse_index_base_b,comdat
.Lfunc_end12:
	.size	_ZN9rocsparseL29bsrmmnn_small_blockdim_kernelILj64ELj8ELj2EiiDF16_DF16_ffEEv20rocsparse_direction_T3_S2_llNS_24const_host_device_scalarIT7_EEPKT2_PKS2_PKT4_PKT5_llS5_PT6_ll16rocsparse_order_21rocsparse_index_base_b, .Lfunc_end12-_ZN9rocsparseL29bsrmmnn_small_blockdim_kernelILj64ELj8ELj2EiiDF16_DF16_ffEEv20rocsparse_direction_T3_S2_llNS_24const_host_device_scalarIT7_EEPKT2_PKS2_PKT4_PKT5_llS5_PT6_ll16rocsparse_order_21rocsparse_index_base_b
                                        ; -- End function
	.set _ZN9rocsparseL29bsrmmnn_small_blockdim_kernelILj64ELj8ELj2EiiDF16_DF16_ffEEv20rocsparse_direction_T3_S2_llNS_24const_host_device_scalarIT7_EEPKT2_PKS2_PKT4_PKT5_llS5_PT6_ll16rocsparse_order_21rocsparse_index_base_b.num_vgpr, 38
	.set _ZN9rocsparseL29bsrmmnn_small_blockdim_kernelILj64ELj8ELj2EiiDF16_DF16_ffEEv20rocsparse_direction_T3_S2_llNS_24const_host_device_scalarIT7_EEPKT2_PKS2_PKT4_PKT5_llS5_PT6_ll16rocsparse_order_21rocsparse_index_base_b.num_agpr, 0
	.set _ZN9rocsparseL29bsrmmnn_small_blockdim_kernelILj64ELj8ELj2EiiDF16_DF16_ffEEv20rocsparse_direction_T3_S2_llNS_24const_host_device_scalarIT7_EEPKT2_PKS2_PKT4_PKT5_llS5_PT6_ll16rocsparse_order_21rocsparse_index_base_b.numbered_sgpr, 26
	.set _ZN9rocsparseL29bsrmmnn_small_blockdim_kernelILj64ELj8ELj2EiiDF16_DF16_ffEEv20rocsparse_direction_T3_S2_llNS_24const_host_device_scalarIT7_EEPKT2_PKS2_PKT4_PKT5_llS5_PT6_ll16rocsparse_order_21rocsparse_index_base_b.num_named_barrier, 0
	.set _ZN9rocsparseL29bsrmmnn_small_blockdim_kernelILj64ELj8ELj2EiiDF16_DF16_ffEEv20rocsparse_direction_T3_S2_llNS_24const_host_device_scalarIT7_EEPKT2_PKS2_PKT4_PKT5_llS5_PT6_ll16rocsparse_order_21rocsparse_index_base_b.private_seg_size, 0
	.set _ZN9rocsparseL29bsrmmnn_small_blockdim_kernelILj64ELj8ELj2EiiDF16_DF16_ffEEv20rocsparse_direction_T3_S2_llNS_24const_host_device_scalarIT7_EEPKT2_PKS2_PKT4_PKT5_llS5_PT6_ll16rocsparse_order_21rocsparse_index_base_b.uses_vcc, 1
	.set _ZN9rocsparseL29bsrmmnn_small_blockdim_kernelILj64ELj8ELj2EiiDF16_DF16_ffEEv20rocsparse_direction_T3_S2_llNS_24const_host_device_scalarIT7_EEPKT2_PKS2_PKT4_PKT5_llS5_PT6_ll16rocsparse_order_21rocsparse_index_base_b.uses_flat_scratch, 0
	.set _ZN9rocsparseL29bsrmmnn_small_blockdim_kernelILj64ELj8ELj2EiiDF16_DF16_ffEEv20rocsparse_direction_T3_S2_llNS_24const_host_device_scalarIT7_EEPKT2_PKS2_PKT4_PKT5_llS5_PT6_ll16rocsparse_order_21rocsparse_index_base_b.has_dyn_sized_stack, 0
	.set _ZN9rocsparseL29bsrmmnn_small_blockdim_kernelILj64ELj8ELj2EiiDF16_DF16_ffEEv20rocsparse_direction_T3_S2_llNS_24const_host_device_scalarIT7_EEPKT2_PKS2_PKT4_PKT5_llS5_PT6_ll16rocsparse_order_21rocsparse_index_base_b.has_recursion, 0
	.set _ZN9rocsparseL29bsrmmnn_small_blockdim_kernelILj64ELj8ELj2EiiDF16_DF16_ffEEv20rocsparse_direction_T3_S2_llNS_24const_host_device_scalarIT7_EEPKT2_PKS2_PKT4_PKT5_llS5_PT6_ll16rocsparse_order_21rocsparse_index_base_b.has_indirect_call, 0
	.section	.AMDGPU.csdata,"",@progbits
; Kernel info:
; codeLenInByte = 1596
; TotalNumSgprs: 28
; NumVgprs: 38
; ScratchSize: 0
; MemoryBound: 0
; FloatMode: 240
; IeeeMode: 1
; LDSByteSize: 640 bytes/workgroup (compile time only)
; SGPRBlocks: 0
; VGPRBlocks: 2
; NumSGPRsForWavesPerEU: 28
; NumVGPRsForWavesPerEU: 38
; NamedBarCnt: 0
; Occupancy: 16
; WaveLimiterHint : 0
; COMPUTE_PGM_RSRC2:SCRATCH_EN: 0
; COMPUTE_PGM_RSRC2:USER_SGPR: 2
; COMPUTE_PGM_RSRC2:TRAP_HANDLER: 0
; COMPUTE_PGM_RSRC2:TGID_X_EN: 1
; COMPUTE_PGM_RSRC2:TGID_Y_EN: 1
; COMPUTE_PGM_RSRC2:TGID_Z_EN: 0
; COMPUTE_PGM_RSRC2:TIDIG_COMP_CNT: 0
	.section	.text._ZN9rocsparseL29bsrmmnn_small_blockdim_kernelILj64ELj8ELj2EliDF16_DF16_ffEEv20rocsparse_direction_T3_S2_llNS_24const_host_device_scalarIT7_EEPKT2_PKS2_PKT4_PKT5_llS5_PT6_ll16rocsparse_order_21rocsparse_index_base_b,"axG",@progbits,_ZN9rocsparseL29bsrmmnn_small_blockdim_kernelILj64ELj8ELj2EliDF16_DF16_ffEEv20rocsparse_direction_T3_S2_llNS_24const_host_device_scalarIT7_EEPKT2_PKS2_PKT4_PKT5_llS5_PT6_ll16rocsparse_order_21rocsparse_index_base_b,comdat
	.globl	_ZN9rocsparseL29bsrmmnn_small_blockdim_kernelILj64ELj8ELj2EliDF16_DF16_ffEEv20rocsparse_direction_T3_S2_llNS_24const_host_device_scalarIT7_EEPKT2_PKS2_PKT4_PKT5_llS5_PT6_ll16rocsparse_order_21rocsparse_index_base_b ; -- Begin function _ZN9rocsparseL29bsrmmnn_small_blockdim_kernelILj64ELj8ELj2EliDF16_DF16_ffEEv20rocsparse_direction_T3_S2_llNS_24const_host_device_scalarIT7_EEPKT2_PKS2_PKT4_PKT5_llS5_PT6_ll16rocsparse_order_21rocsparse_index_base_b
	.p2align	8
	.type	_ZN9rocsparseL29bsrmmnn_small_blockdim_kernelILj64ELj8ELj2EliDF16_DF16_ffEEv20rocsparse_direction_T3_S2_llNS_24const_host_device_scalarIT7_EEPKT2_PKS2_PKT4_PKT5_llS5_PT6_ll16rocsparse_order_21rocsparse_index_base_b,@function
_ZN9rocsparseL29bsrmmnn_small_blockdim_kernelILj64ELj8ELj2EliDF16_DF16_ffEEv20rocsparse_direction_T3_S2_llNS_24const_host_device_scalarIT7_EEPKT2_PKS2_PKT4_PKT5_llS5_PT6_ll16rocsparse_order_21rocsparse_index_base_b: ; @_ZN9rocsparseL29bsrmmnn_small_blockdim_kernelILj64ELj8ELj2EliDF16_DF16_ffEEv20rocsparse_direction_T3_S2_llNS_24const_host_device_scalarIT7_EEPKT2_PKS2_PKT4_PKT5_llS5_PT6_ll16rocsparse_order_21rocsparse_index_base_b
; %bb.0:
	s_clause 0x2
	s_load_b96 s[16:18], s[0:1], 0x78
	s_load_b64 s[2:3], s[0:1], 0x20
	s_load_b64 s[24:25], s[0:1], 0x58
	s_wait_kmcnt 0x0
	s_bitcmp1_b32 s18, 0
	s_cselect_b32 s4, -1, 0
	s_delay_alu instid0(SALU_CYCLE_1)
	s_and_b32 vcc_lo, exec_lo, s4
	s_xor_b32 s4, s4, -1
	s_cbranch_vccnz .LBB13_2
; %bb.1:
	s_load_b32 s2, s[2:3], 0x0
.LBB13_2:
	s_and_not1_b32 vcc_lo, exec_lo, s4
	s_cbranch_vccnz .LBB13_4
; %bb.3:
	s_load_b32 s24, s[24:25], 0x0
.LBB13_4:
	s_wait_kmcnt 0x0
	s_cmp_eq_f32 s2, 0
	s_mov_b32 s5, 0
	s_cselect_b32 s3, -1, 0
	s_cmp_eq_f32 s24, 1.0
	s_cselect_b32 s4, -1, 0
	s_delay_alu instid0(SALU_CYCLE_1) | instskip(NEXT) | instid1(SALU_CYCLE_1)
	s_and_b32 s3, s3, s4
	s_and_b32 vcc_lo, exec_lo, s3
	s_cbranch_vccnz .LBB13_28
; %bb.5:
	s_load_b32 s3, s[0:1], 0x88
	s_bfe_u32 s4, ttmp6, 0x4000c
	s_and_b32 s7, ttmp6, 15
	s_add_co_i32 s4, s4, 1
	s_getreg_b32 s6, hwreg(HW_REG_IB_STS2, 6, 4)
	s_mul_i32 s4, ttmp9, s4
	s_add_nc_u64 s[8:9], s[0:1], 0x88
	s_add_co_i32 s7, s7, s4
	s_cmp_eq_u32 s6, 0
	s_cselect_b32 s7, ttmp9, s7
	s_wait_kmcnt 0x0
	s_cmp_lt_u32 s7, s3
	s_cselect_b32 s4, 12, 18
	s_delay_alu instid0(SALU_CYCLE_1)
	s_add_nc_u64 s[8:9], s[8:9], s[4:5]
	s_mov_b32 s5, exec_lo
	s_load_u16 s4, s[8:9], 0x0
	s_load_b96 s[20:22], s[0:1], 0x0
	s_wait_kmcnt 0x0
	v_mad_u32 v1, s7, s4, v0
	s_delay_alu instid0(VALU_DEP_1) | instskip(NEXT) | instid1(VALU_DEP_1)
	v_lshrrev_b32_e32 v4, 4, v1
	v_cmpx_gt_i32_e64 s21, v4
	s_cbranch_execz .LBB13_28
; %bb.6:
	s_mul_i32 s3, s3, s4
	s_bfe_u32 s4, ttmp6, 0x40010
	s_bfe_u32 s8, ttmp6, 0x40004
	s_add_co_i32 s7, s4, 1
	s_clause 0x1
	s_load_b128 s[12:15], s[0:1], 0x60
	s_load_b64 s[4:5], s[0:1], 0x48
	s_mul_i32 s7, ttmp7, s7
	s_lshr_b32 s3, s3, 4
	v_dual_mov_b32 v5, 0 :: v_dual_bitop2_b32 v6, 7, v1 bitop3:0x40
	s_add_co_i32 s8, s8, s7
	s_cmp_eq_u32 s6, 0
	v_lshrrev_b32_e32 v0, 3, v0
	s_cselect_b32 s6, ttmp7, s8
	v_mov_b32_e32 v9, v5
	v_lshl_or_b32 v2, s6, 3, v6
	s_cmp_neq_f32 s24, 0
	v_dual_mov_b32 v7, v5 :: v_dual_lshrrev_b32 v8, 3, v1
	v_lshl_add_u32 v22, v0, 5, 0x180
	s_delay_alu instid0(VALU_DEP_3)
	v_ashrrev_i32_e32 v3, 31, v2
	v_mul_u32_u24_e32 v23, 48, v0
	v_mul_u32_u24_e32 v25, 6, v6
	v_lshlrev_b32_e32 v0, 2, v8
	s_wait_kmcnt 0x0
	v_mul_u64_e32 v[12:13], s[14:15], v[8:9]
	v_mul_u64_e32 v[10:11], s[14:15], v[2:3]
	;; [unrolled: 1-line block ×3, first 2 shown]
	s_load_b256 s[4:11], s[0:1], 0x28
	s_wait_xcnt 0x0
	s_cselect_b32 s1, -1, 0
	s_cmp_lg_u32 s16, 1
	v_bfe_u32 v9, v1, 3, 1
	s_cselect_b32 s16, -1, 0
	s_cmp_eq_u32 s20, 0
	v_dual_mov_b32 v1, v5 :: v_dual_mov_b32 v17, v5
	s_cselect_b32 s18, -1, 0
	v_lshl_add_u64 v[18:19], v[2:3], 2, s[12:13]
	v_cndmask_b32_e64 v16, 0, 1, s18
	s_mov_b32 s15, 0
	s_mov_b32 s14, s17
	v_add_nc_u32_e32 v25, v23, v25
	v_lshl_or_b32 v24, v6, 2, v22
	v_lshlrev_b32_e32 v16, v16, v9
	v_sub_nc_u64_e64 v[8:9], v[6:7], s[14:15]
	v_cmp_gt_i32_e64 s0, s22, v2
	s_delay_alu instid0(VALU_DEP_3) | instskip(SKIP_1) | instid1(VALU_DEP_1)
	v_lshlrev_b32_e32 v16, 1, v16
	s_wait_kmcnt 0x0
	v_add_nc_u64_e32 v[16:17], s[8:9], v[16:17]
	s_and_b32 s8, s18, exec_lo
	s_cselect_b32 s8, 2, 4
	s_mov_b32 s9, s15
	v_lshl_add_u64 v[20:21], v[10:11], 2, s[12:13]
	v_lshl_add_u64 v[10:11], v[12:13], 2, v[18:19]
	;; [unrolled: 1-line block ×3, first 2 shown]
	s_mov_b32 s10, s15
	s_delay_alu instid0(VALU_DEP_3)
	v_add_nc_u64_e32 v[14:15], v[20:21], v[0:1]
	s_branch .LBB13_8
.LBB13_7:                               ;   in Loop: Header=BB13_8 Depth=1
	s_wait_xcnt 0x0
	s_or_b32 exec_lo, exec_lo, s11
	v_add_nc_u32_e32 v4, s3, v4
	s_delay_alu instid0(VALU_DEP_1) | instskip(SKIP_1) | instid1(SALU_CYCLE_1)
	v_cmp_le_i32_e32 vcc_lo, s21, v4
	s_or_b32 s10, vcc_lo, s10
	s_and_not1_b32 exec_lo, exec_lo, s10
	s_cbranch_execz .LBB13_28
.LBB13_8:                               ; =>This Loop Header: Depth=1
                                        ;     Child Loop BB13_11 Depth 2
	v_lshl_add_u64 v[0:1], v[4:5], 3, s[4:5]
	v_mov_b32_e32 v26, 0
	s_mov_b32 s11, exec_lo
	global_load_b128 v[0:3], v[0:1], off
	s_wait_loadcnt 0x0
	s_wait_xcnt 0x0
	v_cmpx_lt_i64_e64 v[0:1], v[2:3]
	s_cbranch_execz .LBB13_16
; %bb.9:                                ;   in Loop: Header=BB13_8 Depth=1
	v_add_nc_u64_e32 v[20:21], v[8:9], v[0:1]
	v_sub_nc_u64_e64 v[2:3], v[2:3], s[14:15]
	v_sub_nc_u64_e64 v[0:1], v[0:1], s[14:15]
	v_mov_b32_e32 v26, 0
	s_mov_b32 s12, 0
	s_delay_alu instid0(VALU_DEP_4)
	v_lshl_add_u64 v[18:19], v[20:21], 2, s[6:7]
	v_lshl_add_u64 v[20:21], v[20:21], 3, v[16:17]
	s_branch .LBB13_11
.LBB13_10:                              ;   in Loop: Header=BB13_11 Depth=2
	s_or_b32 exec_lo, exec_lo, s13
	v_add_nc_u64_e32 v[0:1], 8, v[0:1]
	v_add_nc_u64_e32 v[18:19], 32, v[18:19]
	;; [unrolled: 1-line block ×3, first 2 shown]
	s_delay_alu instid0(VALU_DEP_3) | instskip(SKIP_1) | instid1(SALU_CYCLE_1)
	v_cmp_ge_i64_e32 vcc_lo, v[0:1], v[2:3]
	s_or_b32 s12, vcc_lo, s12
	s_and_not1_b32 exec_lo, exec_lo, s12
	s_cbranch_execz .LBB13_15
.LBB13_11:                              ;   Parent Loop BB13_8 Depth=1
                                        ; =>  This Inner Loop Header: Depth=2
	s_delay_alu instid0(VALU_DEP_4) | instskip(SKIP_1) | instid1(VALU_DEP_2)
	v_add_nc_u64_e32 v[28:29], v[6:7], v[0:1]
	v_mov_b32_e32 v27, 0
	v_cmp_lt_i64_e32 vcc_lo, v[28:29], v[2:3]
	v_dual_mov_b32 v29, 0 :: v_dual_mov_b32 v28, 0
	s_and_saveexec_b32 s13, vcc_lo
	s_cbranch_execz .LBB13_13
; %bb.12:                               ;   in Loop: Header=BB13_11 Depth=2
	global_load_b32 v29, v[18:19], off
	v_add_nc_u64_e32 v[30:31], s[8:9], v[20:21]
	s_clause 0x1
	global_load_u16 v27, v[20:21], off
	global_load_u16 v28, v[30:31], off
	s_wait_loadcnt 0x2
	v_subrev_nc_u32_e32 v29, s17, v29
	s_delay_alu instid0(VALU_DEP_1)
	v_lshlrev_b32_e32 v29, 1, v29
.LBB13_13:                              ;   in Loop: Header=BB13_11 Depth=2
	s_wait_xcnt 0x0
	s_or_b32 exec_lo, exec_lo, s13
	ds_store_b32 v24, v29
	s_wait_loadcnt 0x1
	ds_store_b16 v25, v27
	s_wait_loadcnt 0x0
	ds_store_b16 v25, v28 offset:2
	s_wait_dscnt 0x0
	s_barrier_signal -1
	s_barrier_wait -1
	s_and_saveexec_b32 s13, s0
	s_cbranch_execz .LBB13_10
; %bb.14:                               ;   in Loop: Header=BB13_11 Depth=2
	ds_load_b128 v[28:31], v22
	ds_load_b128 v[32:35], v22 offset:16
	s_wait_dscnt 0x1
	v_dual_mov_b32 v36, v28 :: v_dual_ashrrev_i32 v37, 31, v28
	s_delay_alu instid0(VALU_DEP_1) | instskip(SKIP_3) | instid1(VALU_DEP_1)
	v_lshl_add_u64 v[36:37], v[36:37], 1, v[12:13]
	global_load_b32 v27, v[36:37], off
	s_wait_xcnt 0x0
	v_dual_mov_b32 v36, v29 :: v_dual_ashrrev_i32 v37, 31, v29
	v_lshl_add_u64 v[28:29], v[36:37], 1, v[12:13]
	v_dual_mov_b32 v36, v30 :: v_dual_ashrrev_i32 v37, 31, v30
	s_wait_dscnt 0x0
	v_mov_b32_e32 v30, v32
	global_load_b32 v38, v[28:29], off
	s_wait_xcnt 0x0
	v_lshl_add_u64 v[28:29], v[36:37], 1, v[12:13]
	v_dual_mov_b32 v36, v31 :: v_dual_ashrrev_i32 v37, 31, v31
	v_ashrrev_i32_e32 v31, 31, v32
	global_load_b32 v39, v[28:29], off
	s_wait_xcnt 0x0
	v_lshl_add_u64 v[28:29], v[36:37], 1, v[12:13]
	global_load_b32 v32, v[28:29], off
	s_wait_xcnt 0x0
	v_lshl_add_u64 v[28:29], v[30:31], 1, v[12:13]
	v_dual_mov_b32 v30, v33 :: v_dual_ashrrev_i32 v31, 31, v33
	global_load_b32 v33, v[28:29], off
	s_wait_xcnt 0x0
	v_lshl_add_u64 v[28:29], v[30:31], 1, v[12:13]
	v_dual_mov_b32 v30, v34 :: v_dual_ashrrev_i32 v31, 31, v34
	;; [unrolled: 4-line block ×3, first 2 shown]
	global_load_b32 v35, v[28:29], off
	s_wait_xcnt 0x0
	v_lshl_add_u64 v[28:29], v[30:31], 1, v[12:13]
	global_load_b32 v30, v[28:29], off
	s_wait_xcnt 0x0
	ds_load_2addr_b32 v[28:29], v23 offset1:3
	ds_load_u16 v31, v23 offset:6
	ds_load_u16 v36, v23 offset:8
	s_wait_loadcnt_dscnt 0x702
	v_fma_mix_f32 v26, v28, v27, v26 op_sel_hi:[1,1,0]
	s_delay_alu instid0(VALU_DEP_1)
	v_fma_mix_f32 v26, v28, v27, v26 op_sel:[1,1,0] op_sel_hi:[1,1,0]
	ds_load_u16 v28, v23 offset:18
	ds_load_u16 v37, v23 offset:20
	ds_load_u16 v40, v23 offset:30
	ds_load_u16 v41, v23 offset:32
	ds_load_u16 v42, v23 offset:42
	ds_load_u16 v43, v23 offset:44
	s_wait_loadcnt_dscnt 0x607
	v_fma_mix_f32 v26, v31, v38, v26 op_sel_hi:[1,1,0]
	s_wait_dscnt 0x6
	s_delay_alu instid0(VALU_DEP_1) | instskip(SKIP_3) | instid1(VALU_DEP_1)
	v_fma_mix_f32 v31, v36, v38, v26 op_sel:[0,1,0] op_sel_hi:[1,1,0]
	ds_load_2addr_b32 v[26:27], v23 offset0:6 offset1:9
	s_wait_loadcnt 0x5
	v_fma_mix_f32 v31, v29, v39, v31 op_sel_hi:[1,1,0]
	v_fma_mix_f32 v29, v29, v39, v31 op_sel:[1,1,0] op_sel_hi:[1,1,0]
	s_wait_loadcnt_dscnt 0x406
	s_delay_alu instid0(VALU_DEP_1) | instskip(SKIP_1) | instid1(VALU_DEP_1)
	v_fma_mix_f32 v28, v28, v32, v29 op_sel_hi:[1,1,0]
	s_wait_dscnt 0x5
	v_fma_mix_f32 v28, v37, v32, v28 op_sel:[0,1,0] op_sel_hi:[1,1,0]
	s_wait_loadcnt_dscnt 0x300
	s_delay_alu instid0(VALU_DEP_1) | instskip(NEXT) | instid1(VALU_DEP_1)
	v_fma_mix_f32 v28, v26, v33, v28 op_sel_hi:[1,1,0]
	v_fma_mix_f32 v26, v26, v33, v28 op_sel:[1,1,0] op_sel_hi:[1,1,0]
	s_wait_loadcnt 0x2
	s_delay_alu instid0(VALU_DEP_1) | instskip(NEXT) | instid1(VALU_DEP_1)
	v_fma_mix_f32 v26, v40, v34, v26 op_sel_hi:[1,1,0]
	v_fma_mix_f32 v26, v41, v34, v26 op_sel:[0,1,0] op_sel_hi:[1,1,0]
	s_wait_loadcnt 0x1
	s_delay_alu instid0(VALU_DEP_1) | instskip(NEXT) | instid1(VALU_DEP_1)
	v_fma_mix_f32 v26, v27, v35, v26 op_sel_hi:[1,1,0]
	v_fma_mix_f32 v26, v27, v35, v26 op_sel:[1,1,0] op_sel_hi:[1,1,0]
	s_wait_loadcnt 0x0
	s_delay_alu instid0(VALU_DEP_1) | instskip(NEXT) | instid1(VALU_DEP_1)
	v_fma_mix_f32 v26, v42, v30, v26 op_sel_hi:[1,1,0]
	v_fma_mix_f32 v26, v43, v30, v26 op_sel:[0,1,0] op_sel_hi:[1,1,0]
	s_branch .LBB13_10
.LBB13_15:                              ;   in Loop: Header=BB13_8 Depth=1
	s_or_b32 exec_lo, exec_lo, s12
.LBB13_16:                              ;   in Loop: Header=BB13_8 Depth=1
	s_delay_alu instid0(SALU_CYCLE_1)
	s_or_b32 exec_lo, exec_lo, s11
	s_and_saveexec_b32 s11, s0
	s_cbranch_execz .LBB13_7
; %bb.17:                               ;   in Loop: Header=BB13_8 Depth=1
	v_mul_f32_e32 v0, s2, v26
	s_and_b32 vcc_lo, exec_lo, s1
	s_cbranch_vccz .LBB13_23
; %bb.18:                               ;   in Loop: Header=BB13_8 Depth=1
	s_and_b32 vcc_lo, exec_lo, s16
	s_mov_b32 s12, -1
	s_cbranch_vccz .LBB13_20
; %bb.19:                               ;   in Loop: Header=BB13_8 Depth=1
	global_load_b32 v1, v[10:11], off
	s_mov_b32 s12, 0
	s_wait_loadcnt 0x0
	v_fma_f32 v1, s24, v1, v0
	global_store_b32 v[10:11], v1, off
.LBB13_20:                              ;   in Loop: Header=BB13_8 Depth=1
	s_and_not1_b32 vcc_lo, exec_lo, s12
	s_cbranch_vccnz .LBB13_22
; %bb.21:                               ;   in Loop: Header=BB13_8 Depth=1
	global_load_b32 v1, v[14:15], off
	s_wait_loadcnt 0x0
	v_fma_f32 v1, s24, v1, v0
	global_store_b32 v[14:15], v1, off
.LBB13_22:                              ;   in Loop: Header=BB13_8 Depth=1
	s_cbranch_execnz .LBB13_7
	s_branch .LBB13_24
.LBB13_23:                              ;   in Loop: Header=BB13_8 Depth=1
.LBB13_24:                              ;   in Loop: Header=BB13_8 Depth=1
	s_and_b32 vcc_lo, exec_lo, s16
	s_mov_b32 s12, -1
	s_cbranch_vccz .LBB13_26
; %bb.25:                               ;   in Loop: Header=BB13_8 Depth=1
	s_mov_b32 s12, 0
	global_store_b32 v[10:11], v0, off
.LBB13_26:                              ;   in Loop: Header=BB13_8 Depth=1
	s_and_not1_b32 vcc_lo, exec_lo, s12
	s_cbranch_vccnz .LBB13_7
; %bb.27:                               ;   in Loop: Header=BB13_8 Depth=1
	global_store_b32 v[14:15], v0, off
	s_branch .LBB13_7
.LBB13_28:
	s_endpgm
	.section	.rodata,"a",@progbits
	.p2align	6, 0x0
	.amdhsa_kernel _ZN9rocsparseL29bsrmmnn_small_blockdim_kernelILj64ELj8ELj2EliDF16_DF16_ffEEv20rocsparse_direction_T3_S2_llNS_24const_host_device_scalarIT7_EEPKT2_PKS2_PKT4_PKT5_llS5_PT6_ll16rocsparse_order_21rocsparse_index_base_b
		.amdhsa_group_segment_fixed_size 640
		.amdhsa_private_segment_fixed_size 0
		.amdhsa_kernarg_size 392
		.amdhsa_user_sgpr_count 2
		.amdhsa_user_sgpr_dispatch_ptr 0
		.amdhsa_user_sgpr_queue_ptr 0
		.amdhsa_user_sgpr_kernarg_segment_ptr 1
		.amdhsa_user_sgpr_dispatch_id 0
		.amdhsa_user_sgpr_kernarg_preload_length 0
		.amdhsa_user_sgpr_kernarg_preload_offset 0
		.amdhsa_user_sgpr_private_segment_size 0
		.amdhsa_wavefront_size32 1
		.amdhsa_uses_dynamic_stack 0
		.amdhsa_enable_private_segment 0
		.amdhsa_system_sgpr_workgroup_id_x 1
		.amdhsa_system_sgpr_workgroup_id_y 1
		.amdhsa_system_sgpr_workgroup_id_z 0
		.amdhsa_system_sgpr_workgroup_info 0
		.amdhsa_system_vgpr_workitem_id 0
		.amdhsa_next_free_vgpr 44
		.amdhsa_next_free_sgpr 26
		.amdhsa_named_barrier_count 0
		.amdhsa_reserve_vcc 1
		.amdhsa_float_round_mode_32 0
		.amdhsa_float_round_mode_16_64 0
		.amdhsa_float_denorm_mode_32 3
		.amdhsa_float_denorm_mode_16_64 3
		.amdhsa_fp16_overflow 0
		.amdhsa_memory_ordered 1
		.amdhsa_forward_progress 1
		.amdhsa_inst_pref_size 13
		.amdhsa_round_robin_scheduling 0
		.amdhsa_exception_fp_ieee_invalid_op 0
		.amdhsa_exception_fp_denorm_src 0
		.amdhsa_exception_fp_ieee_div_zero 0
		.amdhsa_exception_fp_ieee_overflow 0
		.amdhsa_exception_fp_ieee_underflow 0
		.amdhsa_exception_fp_ieee_inexact 0
		.amdhsa_exception_int_div_zero 0
	.end_amdhsa_kernel
	.section	.text._ZN9rocsparseL29bsrmmnn_small_blockdim_kernelILj64ELj8ELj2EliDF16_DF16_ffEEv20rocsparse_direction_T3_S2_llNS_24const_host_device_scalarIT7_EEPKT2_PKS2_PKT4_PKT5_llS5_PT6_ll16rocsparse_order_21rocsparse_index_base_b,"axG",@progbits,_ZN9rocsparseL29bsrmmnn_small_blockdim_kernelILj64ELj8ELj2EliDF16_DF16_ffEEv20rocsparse_direction_T3_S2_llNS_24const_host_device_scalarIT7_EEPKT2_PKS2_PKT4_PKT5_llS5_PT6_ll16rocsparse_order_21rocsparse_index_base_b,comdat
.Lfunc_end13:
	.size	_ZN9rocsparseL29bsrmmnn_small_blockdim_kernelILj64ELj8ELj2EliDF16_DF16_ffEEv20rocsparse_direction_T3_S2_llNS_24const_host_device_scalarIT7_EEPKT2_PKS2_PKT4_PKT5_llS5_PT6_ll16rocsparse_order_21rocsparse_index_base_b, .Lfunc_end13-_ZN9rocsparseL29bsrmmnn_small_blockdim_kernelILj64ELj8ELj2EliDF16_DF16_ffEEv20rocsparse_direction_T3_S2_llNS_24const_host_device_scalarIT7_EEPKT2_PKS2_PKT4_PKT5_llS5_PT6_ll16rocsparse_order_21rocsparse_index_base_b
                                        ; -- End function
	.set _ZN9rocsparseL29bsrmmnn_small_blockdim_kernelILj64ELj8ELj2EliDF16_DF16_ffEEv20rocsparse_direction_T3_S2_llNS_24const_host_device_scalarIT7_EEPKT2_PKS2_PKT4_PKT5_llS5_PT6_ll16rocsparse_order_21rocsparse_index_base_b.num_vgpr, 44
	.set _ZN9rocsparseL29bsrmmnn_small_blockdim_kernelILj64ELj8ELj2EliDF16_DF16_ffEEv20rocsparse_direction_T3_S2_llNS_24const_host_device_scalarIT7_EEPKT2_PKS2_PKT4_PKT5_llS5_PT6_ll16rocsparse_order_21rocsparse_index_base_b.num_agpr, 0
	.set _ZN9rocsparseL29bsrmmnn_small_blockdim_kernelILj64ELj8ELj2EliDF16_DF16_ffEEv20rocsparse_direction_T3_S2_llNS_24const_host_device_scalarIT7_EEPKT2_PKS2_PKT4_PKT5_llS5_PT6_ll16rocsparse_order_21rocsparse_index_base_b.numbered_sgpr, 26
	.set _ZN9rocsparseL29bsrmmnn_small_blockdim_kernelILj64ELj8ELj2EliDF16_DF16_ffEEv20rocsparse_direction_T3_S2_llNS_24const_host_device_scalarIT7_EEPKT2_PKS2_PKT4_PKT5_llS5_PT6_ll16rocsparse_order_21rocsparse_index_base_b.num_named_barrier, 0
	.set _ZN9rocsparseL29bsrmmnn_small_blockdim_kernelILj64ELj8ELj2EliDF16_DF16_ffEEv20rocsparse_direction_T3_S2_llNS_24const_host_device_scalarIT7_EEPKT2_PKS2_PKT4_PKT5_llS5_PT6_ll16rocsparse_order_21rocsparse_index_base_b.private_seg_size, 0
	.set _ZN9rocsparseL29bsrmmnn_small_blockdim_kernelILj64ELj8ELj2EliDF16_DF16_ffEEv20rocsparse_direction_T3_S2_llNS_24const_host_device_scalarIT7_EEPKT2_PKS2_PKT4_PKT5_llS5_PT6_ll16rocsparse_order_21rocsparse_index_base_b.uses_vcc, 1
	.set _ZN9rocsparseL29bsrmmnn_small_blockdim_kernelILj64ELj8ELj2EliDF16_DF16_ffEEv20rocsparse_direction_T3_S2_llNS_24const_host_device_scalarIT7_EEPKT2_PKS2_PKT4_PKT5_llS5_PT6_ll16rocsparse_order_21rocsparse_index_base_b.uses_flat_scratch, 0
	.set _ZN9rocsparseL29bsrmmnn_small_blockdim_kernelILj64ELj8ELj2EliDF16_DF16_ffEEv20rocsparse_direction_T3_S2_llNS_24const_host_device_scalarIT7_EEPKT2_PKS2_PKT4_PKT5_llS5_PT6_ll16rocsparse_order_21rocsparse_index_base_b.has_dyn_sized_stack, 0
	.set _ZN9rocsparseL29bsrmmnn_small_blockdim_kernelILj64ELj8ELj2EliDF16_DF16_ffEEv20rocsparse_direction_T3_S2_llNS_24const_host_device_scalarIT7_EEPKT2_PKS2_PKT4_PKT5_llS5_PT6_ll16rocsparse_order_21rocsparse_index_base_b.has_recursion, 0
	.set _ZN9rocsparseL29bsrmmnn_small_blockdim_kernelILj64ELj8ELj2EliDF16_DF16_ffEEv20rocsparse_direction_T3_S2_llNS_24const_host_device_scalarIT7_EEPKT2_PKS2_PKT4_PKT5_llS5_PT6_ll16rocsparse_order_21rocsparse_index_base_b.has_indirect_call, 0
	.section	.AMDGPU.csdata,"",@progbits
; Kernel info:
; codeLenInByte = 1648
; TotalNumSgprs: 28
; NumVgprs: 44
; ScratchSize: 0
; MemoryBound: 0
; FloatMode: 240
; IeeeMode: 1
; LDSByteSize: 640 bytes/workgroup (compile time only)
; SGPRBlocks: 0
; VGPRBlocks: 2
; NumSGPRsForWavesPerEU: 28
; NumVGPRsForWavesPerEU: 44
; NamedBarCnt: 0
; Occupancy: 16
; WaveLimiterHint : 0
; COMPUTE_PGM_RSRC2:SCRATCH_EN: 0
; COMPUTE_PGM_RSRC2:USER_SGPR: 2
; COMPUTE_PGM_RSRC2:TRAP_HANDLER: 0
; COMPUTE_PGM_RSRC2:TGID_X_EN: 1
; COMPUTE_PGM_RSRC2:TGID_Y_EN: 1
; COMPUTE_PGM_RSRC2:TGID_Z_EN: 0
; COMPUTE_PGM_RSRC2:TIDIG_COMP_CNT: 0
	.section	.text._ZN9rocsparseL29bsrmmnn_small_blockdim_kernelILj64ELj8ELj2EllDF16_DF16_ffEEv20rocsparse_direction_T3_S2_llNS_24const_host_device_scalarIT7_EEPKT2_PKS2_PKT4_PKT5_llS5_PT6_ll16rocsparse_order_21rocsparse_index_base_b,"axG",@progbits,_ZN9rocsparseL29bsrmmnn_small_blockdim_kernelILj64ELj8ELj2EllDF16_DF16_ffEEv20rocsparse_direction_T3_S2_llNS_24const_host_device_scalarIT7_EEPKT2_PKS2_PKT4_PKT5_llS5_PT6_ll16rocsparse_order_21rocsparse_index_base_b,comdat
	.globl	_ZN9rocsparseL29bsrmmnn_small_blockdim_kernelILj64ELj8ELj2EllDF16_DF16_ffEEv20rocsparse_direction_T3_S2_llNS_24const_host_device_scalarIT7_EEPKT2_PKS2_PKT4_PKT5_llS5_PT6_ll16rocsparse_order_21rocsparse_index_base_b ; -- Begin function _ZN9rocsparseL29bsrmmnn_small_blockdim_kernelILj64ELj8ELj2EllDF16_DF16_ffEEv20rocsparse_direction_T3_S2_llNS_24const_host_device_scalarIT7_EEPKT2_PKS2_PKT4_PKT5_llS5_PT6_ll16rocsparse_order_21rocsparse_index_base_b
	.p2align	8
	.type	_ZN9rocsparseL29bsrmmnn_small_blockdim_kernelILj64ELj8ELj2EllDF16_DF16_ffEEv20rocsparse_direction_T3_S2_llNS_24const_host_device_scalarIT7_EEPKT2_PKS2_PKT4_PKT5_llS5_PT6_ll16rocsparse_order_21rocsparse_index_base_b,@function
_ZN9rocsparseL29bsrmmnn_small_blockdim_kernelILj64ELj8ELj2EllDF16_DF16_ffEEv20rocsparse_direction_T3_S2_llNS_24const_host_device_scalarIT7_EEPKT2_PKS2_PKT4_PKT5_llS5_PT6_ll16rocsparse_order_21rocsparse_index_base_b: ; @_ZN9rocsparseL29bsrmmnn_small_blockdim_kernelILj64ELj8ELj2EllDF16_DF16_ffEEv20rocsparse_direction_T3_S2_llNS_24const_host_device_scalarIT7_EEPKT2_PKS2_PKT4_PKT5_llS5_PT6_ll16rocsparse_order_21rocsparse_index_base_b
; %bb.0:
	s_clause 0x2
	s_load_b96 s[20:22], s[0:1], 0x80
	s_load_b64 s[2:3], s[0:1], 0x28
	s_load_b64 s[24:25], s[0:1], 0x60
	s_wait_kmcnt 0x0
	s_bitcmp1_b32 s22, 0
	s_cselect_b32 s4, -1, 0
	s_delay_alu instid0(SALU_CYCLE_1)
	s_and_b32 vcc_lo, exec_lo, s4
	s_xor_b32 s4, s4, -1
	s_cbranch_vccnz .LBB14_2
; %bb.1:
	s_load_b32 s2, s[2:3], 0x0
.LBB14_2:
	s_and_not1_b32 vcc_lo, exec_lo, s4
	s_cbranch_vccnz .LBB14_4
; %bb.3:
	s_load_b32 s24, s[24:25], 0x0
.LBB14_4:
	s_wait_kmcnt 0x0
	s_cmp_eq_f32 s2, 0
	s_mov_b32 s5, 0
	s_cselect_b32 s3, -1, 0
	s_cmp_eq_f32 s24, 1.0
	s_cselect_b32 s4, -1, 0
	s_delay_alu instid0(SALU_CYCLE_1) | instskip(NEXT) | instid1(SALU_CYCLE_1)
	s_and_b32 s3, s3, s4
	s_and_b32 vcc_lo, exec_lo, s3
	s_cbranch_vccnz .LBB14_28
; %bb.5:
	s_load_b32 s3, s[0:1], 0x90
	s_bfe_u32 s4, ttmp6, 0x4000c
	s_and_b32 s6, ttmp6, 15
	s_add_co_i32 s4, s4, 1
	s_getreg_b32 s23, hwreg(HW_REG_IB_STS2, 6, 4)
	s_mul_i32 s4, ttmp9, s4
	s_delay_alu instid0(SALU_CYCLE_1)
	s_add_co_i32 s6, s6, s4
	s_cmp_eq_u32 s23, 0
	s_cselect_b32 s8, ttmp9, s6
	s_add_nc_u64 s[6:7], s[0:1], 0x90
	s_wait_kmcnt 0x0
	s_cmp_lt_u32 s8, s3
	s_cselect_b32 s4, 12, 18
	s_delay_alu instid0(SALU_CYCLE_1)
	s_add_nc_u64 s[4:5], s[6:7], s[4:5]
	s_load_u16 s22, s[4:5], 0x0
	s_load_b128 s[12:15], s[0:1], 0x8
	s_wait_xcnt 0x0
	s_mov_b32 s4, exec_lo
	s_wait_kmcnt 0x0
	v_mad_u32 v1, s8, s22, v0
	s_delay_alu instid0(VALU_DEP_1) | instskip(NEXT) | instid1(VALU_DEP_1)
	v_dual_mov_b32 v5, 0 :: v_dual_lshrrev_b32 v4, 4, v1
	v_cmpx_gt_i64_e64 s[12:13], v[4:5]
	s_cbranch_execz .LBB14_28
; %bb.6:
	s_clause 0x2
	s_load_b256 s[4:11], s[0:1], 0x30
	s_load_b128 s[16:19], s[0:1], 0x68
	s_load_b64 s[26:27], s[0:1], 0x50
	s_bfe_u32 s25, ttmp6, 0x40010
	s_mul_i32 s3, s3, s22
	s_add_co_i32 s25, s25, 1
	s_bfe_u32 s28, ttmp6, 0x40004
	s_mul_i32 s25, ttmp7, s25
	v_mov_b64_e32 v[6:7], v[4:5]
	s_lshr_b32 s22, s3, 4
	s_add_co_i32 s28, s28, s25
	v_dual_mov_b32 v3, v5 :: v_dual_bitop2_b32 v4, 7, v1 bitop3:0x40
	s_cmp_eq_u32 s23, 0
	v_dual_mov_b32 v9, v5 :: v_dual_lshrrev_b32 v8, 3, v1
	s_cselect_b32 s3, ttmp7, s28
	s_load_b32 s25, s[0:1], 0x0
	v_lshl_or_b32 v2, s3, 3, v4
	s_cmp_neq_f32 s24, 0
	s_mov_b32 s23, 0
	s_wait_kmcnt 0x0
	v_mul_u64_e32 v[12:13], s[18:19], v[8:9]
	v_dual_lshrrev_b32 v9, 3, v0 :: v_dual_lshrrev_b32 v0, 2, v1
	v_mul_u64_e32 v[14:15], s[18:19], v[2:3]
	v_mul_u64_e32 v[16:17], s[26:27], v[2:3]
	v_dual_mov_b32 v1, v5 :: v_dual_mov_b32 v11, v5
	s_delay_alu instid0(VALU_DEP_4) | instskip(SKIP_3) | instid1(VALU_DEP_2)
	v_dual_lshlrev_b32 v24, 6, v9 :: v_dual_bitop2_b32 v0, 2, v0 bitop3:0x40
	s_cselect_b32 s1, -1, 0
	s_cmp_lg_u32 s20, 1
	v_mul_u32_u24_e32 v20, 48, v9
	v_add_nc_u64_e32 v[18:19], s[8:9], v[0:1]
	s_cselect_b32 s3, -1, 0
	v_mul_u32_u24_e32 v22, 6, v4
	v_cmp_gt_i64_e64 s0, s[14:15], v[2:3]
	s_cmp_eq_u32 s25, 0
	v_or_b32_e32 v26, 0x200, v20
	s_cselect_b32 vcc_lo, -1, 0
	v_add_nc_u64_e32 v[0:1], v[18:19], v[0:1]
	v_lshlrev_b32_e32 v10, 2, v8
	v_lshl_add_u64 v[2:3], v[2:3], 2, s[16:17]
	s_mov_b32 s18, s21
	s_mov_b32 s19, s23
	v_lshl_or_b32 v25, v4, 3, v24
	v_add_nc_u64_e32 v[20:21], s[16:17], v[10:11]
	v_sub_nc_u64_e64 v[8:9], v[4:5], s[18:19]
	v_dual_cndmask_b32 v11, v19, v1 :: v_dual_cndmask_b32 v10, v18, v0
	v_add_nc_u32_e32 v27, v26, v22
	s_and_b32 s8, vcc_lo, exec_lo
	s_cselect_b32 s8, 2, 4
	v_lshl_add_u64 v[12:13], v[12:13], 2, v[2:3]
	s_mov_b32 s9, s23
	v_lshl_add_u64 v[14:15], v[14:15], 2, v[20:21]
	v_lshl_add_u64 v[16:17], v[16:17], 1, s[10:11]
	s_mov_b32 s10, s23
	s_branch .LBB14_8
.LBB14_7:                               ;   in Loop: Header=BB14_8 Depth=1
	s_wait_xcnt 0x0
	s_or_b32 exec_lo, exec_lo, s11
	v_add_nc_u64_e32 v[6:7], s[22:23], v[6:7]
	s_delay_alu instid0(VALU_DEP_1) | instskip(SKIP_1) | instid1(SALU_CYCLE_1)
	v_cmp_le_i64_e32 vcc_lo, s[12:13], v[6:7]
	s_or_b32 s10, vcc_lo, s10
	s_and_not1_b32 exec_lo, exec_lo, s10
	s_cbranch_execz .LBB14_28
.LBB14_8:                               ; =>This Loop Header: Depth=1
                                        ;     Child Loop BB14_11 Depth 2
	v_lshl_add_u64 v[0:1], v[6:7], 3, s[4:5]
	v_mov_b32_e32 v28, 0
	s_mov_b32 s11, exec_lo
	global_load_b128 v[0:3], v[0:1], off
	s_wait_loadcnt 0x0
	s_wait_xcnt 0x0
	v_cmpx_lt_i64_e64 v[0:1], v[2:3]
	s_cbranch_execz .LBB14_16
; %bb.9:                                ;   in Loop: Header=BB14_8 Depth=1
	v_add_nc_u64_e32 v[18:19], v[8:9], v[0:1]
	v_sub_nc_u64_e64 v[2:3], v[2:3], s[18:19]
	v_sub_nc_u64_e64 v[0:1], v[0:1], s[18:19]
	v_mov_b32_e32 v28, 0
	s_mov_b32 s14, 0
	s_delay_alu instid0(VALU_DEP_4) | instskip(NEXT) | instid1(VALU_DEP_1)
	v_lshlrev_b64_e32 v[20:21], 3, v[18:19]
	v_add_nc_u64_e32 v[18:19], s[6:7], v[20:21]
	v_add_nc_u64_e32 v[20:21], v[10:11], v[20:21]
	s_branch .LBB14_11
.LBB14_10:                              ;   in Loop: Header=BB14_11 Depth=2
	s_or_b32 exec_lo, exec_lo, s15
	v_add_nc_u64_e32 v[0:1], 8, v[0:1]
	v_add_nc_u64_e32 v[18:19], 64, v[18:19]
	;; [unrolled: 1-line block ×3, first 2 shown]
	s_delay_alu instid0(VALU_DEP_3) | instskip(SKIP_1) | instid1(SALU_CYCLE_1)
	v_cmp_ge_i64_e32 vcc_lo, v[0:1], v[2:3]
	s_or_b32 s14, vcc_lo, s14
	s_and_not1_b32 exec_lo, exec_lo, s14
	s_cbranch_execz .LBB14_15
.LBB14_11:                              ;   Parent Loop BB14_8 Depth=1
                                        ; =>  This Inner Loop Header: Depth=2
	v_add_nc_u64_e32 v[22:23], v[4:5], v[0:1]
	v_dual_mov_b32 v29, 0 :: v_dual_mov_b32 v30, 0
	s_delay_alu instid0(VALU_DEP_2)
	v_cmp_lt_i64_e32 vcc_lo, v[22:23], v[2:3]
	v_mov_b64_e32 v[22:23], 0
	s_and_saveexec_b32 s15, vcc_lo
	s_cbranch_execz .LBB14_13
; %bb.12:                               ;   in Loop: Header=BB14_11 Depth=2
	global_load_b64 v[22:23], v[18:19], off
	v_add_nc_u64_e32 v[32:33], s[8:9], v[20:21]
	s_clause 0x1
	global_load_u16 v29, v[20:21], off
	global_load_u16 v30, v[32:33], off
	s_wait_loadcnt 0x2
	v_sub_nc_u64_e64 v[22:23], v[22:23], s[18:19]
	s_delay_alu instid0(VALU_DEP_1)
	v_lshlrev_b64_e32 v[22:23], 1, v[22:23]
.LBB14_13:                              ;   in Loop: Header=BB14_11 Depth=2
	s_wait_xcnt 0x0
	s_or_b32 exec_lo, exec_lo, s15
	ds_store_b64 v25, v[22:23]
	s_wait_loadcnt 0x1
	ds_store_b16 v27, v29
	s_wait_loadcnt 0x0
	ds_store_b16 v27, v30 offset:2
	s_wait_dscnt 0x0
	s_barrier_signal -1
	s_barrier_wait -1
	s_and_saveexec_b32 s15, s0
	s_cbranch_execz .LBB14_10
; %bb.14:                               ;   in Loop: Header=BB14_11 Depth=2
	ds_load_b128 v[30:33], v24
	ds_load_b128 v[34:37], v24 offset:16
	s_wait_dscnt 0x1
	v_lshl_add_u64 v[22:23], v[30:31], 1, v[16:17]
	global_load_b32 v29, v[22:23], off
	s_wait_xcnt 0x0
	v_lshl_add_u64 v[22:23], v[32:33], 1, v[16:17]
	ds_load_b128 v[30:33], v24 offset:32
	global_load_b32 v38, v[22:23], off
	s_wait_dscnt 0x1
	s_wait_xcnt 0x0
	v_lshl_add_u64 v[22:23], v[34:35], 1, v[16:17]
	global_load_b32 v39, v[22:23], off
	s_wait_xcnt 0x0
	v_lshl_add_u64 v[22:23], v[36:37], 1, v[16:17]
	ds_load_b128 v[34:37], v24 offset:48
	global_load_b32 v40, v[22:23], off
	s_wait_dscnt 0x1
	s_wait_xcnt 0x0
	v_lshl_add_u64 v[22:23], v[30:31], 1, v[16:17]
	global_load_b32 v30, v[22:23], off
	s_wait_xcnt 0x0
	v_lshl_add_u64 v[22:23], v[32:33], 1, v[16:17]
	global_load_b32 v31, v[22:23], off
	s_wait_dscnt 0x0
	s_wait_xcnt 0x0
	v_lshl_add_u64 v[22:23], v[34:35], 1, v[16:17]
	global_load_b32 v32, v[22:23], off
	s_wait_xcnt 0x0
	v_lshl_add_u64 v[22:23], v[36:37], 1, v[16:17]
	global_load_b32 v33, v[22:23], off
	s_wait_xcnt 0x0
	ds_load_2addr_b32 v[22:23], v26 offset1:3
	ds_load_u16 v34, v26 offset:6
	ds_load_u16 v35, v26 offset:8
	;; [unrolled: 1-line block ×8, first 2 shown]
	s_wait_loadcnt_dscnt 0x708
	v_fma_mix_f32 v28, v22, v29, v28 op_sel_hi:[1,1,0]
	s_delay_alu instid0(VALU_DEP_1) | instskip(SKIP_4) | instid1(VALU_DEP_1)
	v_fma_mix_f32 v22, v22, v29, v28 op_sel:[1,1,0] op_sel_hi:[1,1,0]
	ds_load_2addr_b32 v[28:29], v26 offset0:6 offset1:9
	s_wait_loadcnt_dscnt 0x608
	v_fma_mix_f32 v22, v34, v38, v22 op_sel_hi:[1,1,0]
	s_wait_dscnt 0x7
	v_fma_mix_f32 v22, v35, v38, v22 op_sel:[0,1,0] op_sel_hi:[1,1,0]
	s_wait_loadcnt 0x5
	s_delay_alu instid0(VALU_DEP_1) | instskip(NEXT) | instid1(VALU_DEP_1)
	v_fma_mix_f32 v22, v23, v39, v22 op_sel_hi:[1,1,0]
	v_fma_mix_f32 v22, v23, v39, v22 op_sel:[1,1,0] op_sel_hi:[1,1,0]
	s_wait_loadcnt_dscnt 0x406
	s_delay_alu instid0(VALU_DEP_1) | instskip(SKIP_1) | instid1(VALU_DEP_1)
	v_fma_mix_f32 v22, v36, v40, v22 op_sel_hi:[1,1,0]
	s_wait_dscnt 0x5
	v_fma_mix_f32 v22, v37, v40, v22 op_sel:[0,1,0] op_sel_hi:[1,1,0]
	s_wait_loadcnt_dscnt 0x300
	s_delay_alu instid0(VALU_DEP_1) | instskip(NEXT) | instid1(VALU_DEP_1)
	v_fma_mix_f32 v22, v28, v30, v22 op_sel_hi:[1,1,0]
	v_fma_mix_f32 v22, v28, v30, v22 op_sel:[1,1,0] op_sel_hi:[1,1,0]
	s_wait_loadcnt 0x2
	s_delay_alu instid0(VALU_DEP_1) | instskip(NEXT) | instid1(VALU_DEP_1)
	v_fma_mix_f32 v22, v41, v31, v22 op_sel_hi:[1,1,0]
	v_fma_mix_f32 v22, v42, v31, v22 op_sel:[0,1,0] op_sel_hi:[1,1,0]
	s_wait_loadcnt 0x1
	;; [unrolled: 4-line block ×3, first 2 shown]
	s_delay_alu instid0(VALU_DEP_1) | instskip(NEXT) | instid1(VALU_DEP_1)
	v_fma_mix_f32 v22, v43, v33, v22 op_sel_hi:[1,1,0]
	v_fma_mix_f32 v28, v44, v33, v22 op_sel:[0,1,0] op_sel_hi:[1,1,0]
	s_branch .LBB14_10
.LBB14_15:                              ;   in Loop: Header=BB14_8 Depth=1
	s_or_b32 exec_lo, exec_lo, s14
.LBB14_16:                              ;   in Loop: Header=BB14_8 Depth=1
	s_delay_alu instid0(SALU_CYCLE_1)
	s_or_b32 exec_lo, exec_lo, s11
	s_and_saveexec_b32 s11, s0
	s_cbranch_execz .LBB14_7
; %bb.17:                               ;   in Loop: Header=BB14_8 Depth=1
	v_mul_f32_e32 v0, s2, v28
	s_and_b32 vcc_lo, exec_lo, s1
	s_cbranch_vccz .LBB14_23
; %bb.18:                               ;   in Loop: Header=BB14_8 Depth=1
	s_and_b32 vcc_lo, exec_lo, s3
	s_mov_b32 s14, -1
	s_cbranch_vccz .LBB14_20
; %bb.19:                               ;   in Loop: Header=BB14_8 Depth=1
	global_load_b32 v1, v[12:13], off
	s_mov_b32 s14, 0
	s_wait_loadcnt 0x0
	v_fma_f32 v1, s24, v1, v0
	global_store_b32 v[12:13], v1, off
.LBB14_20:                              ;   in Loop: Header=BB14_8 Depth=1
	s_and_not1_b32 vcc_lo, exec_lo, s14
	s_cbranch_vccnz .LBB14_22
; %bb.21:                               ;   in Loop: Header=BB14_8 Depth=1
	global_load_b32 v1, v[14:15], off
	s_wait_loadcnt 0x0
	v_fma_f32 v1, s24, v1, v0
	global_store_b32 v[14:15], v1, off
.LBB14_22:                              ;   in Loop: Header=BB14_8 Depth=1
	s_cbranch_execnz .LBB14_7
	s_branch .LBB14_24
.LBB14_23:                              ;   in Loop: Header=BB14_8 Depth=1
.LBB14_24:                              ;   in Loop: Header=BB14_8 Depth=1
	s_and_b32 vcc_lo, exec_lo, s3
	s_mov_b32 s14, -1
	s_cbranch_vccz .LBB14_26
; %bb.25:                               ;   in Loop: Header=BB14_8 Depth=1
	s_mov_b32 s14, 0
	global_store_b32 v[12:13], v0, off
.LBB14_26:                              ;   in Loop: Header=BB14_8 Depth=1
	s_and_not1_b32 vcc_lo, exec_lo, s14
	s_cbranch_vccnz .LBB14_7
; %bb.27:                               ;   in Loop: Header=BB14_8 Depth=1
	global_store_b32 v[14:15], v0, off
	s_branch .LBB14_7
.LBB14_28:
	s_endpgm
	.section	.rodata,"a",@progbits
	.p2align	6, 0x0
	.amdhsa_kernel _ZN9rocsparseL29bsrmmnn_small_blockdim_kernelILj64ELj8ELj2EllDF16_DF16_ffEEv20rocsparse_direction_T3_S2_llNS_24const_host_device_scalarIT7_EEPKT2_PKS2_PKT4_PKT5_llS5_PT6_ll16rocsparse_order_21rocsparse_index_base_b
		.amdhsa_group_segment_fixed_size 896
		.amdhsa_private_segment_fixed_size 0
		.amdhsa_kernarg_size 400
		.amdhsa_user_sgpr_count 2
		.amdhsa_user_sgpr_dispatch_ptr 0
		.amdhsa_user_sgpr_queue_ptr 0
		.amdhsa_user_sgpr_kernarg_segment_ptr 1
		.amdhsa_user_sgpr_dispatch_id 0
		.amdhsa_user_sgpr_kernarg_preload_length 0
		.amdhsa_user_sgpr_kernarg_preload_offset 0
		.amdhsa_user_sgpr_private_segment_size 0
		.amdhsa_wavefront_size32 1
		.amdhsa_uses_dynamic_stack 0
		.amdhsa_enable_private_segment 0
		.amdhsa_system_sgpr_workgroup_id_x 1
		.amdhsa_system_sgpr_workgroup_id_y 1
		.amdhsa_system_sgpr_workgroup_id_z 0
		.amdhsa_system_sgpr_workgroup_info 0
		.amdhsa_system_vgpr_workitem_id 0
		.amdhsa_next_free_vgpr 45
		.amdhsa_next_free_sgpr 29
		.amdhsa_named_barrier_count 0
		.amdhsa_reserve_vcc 1
		.amdhsa_float_round_mode_32 0
		.amdhsa_float_round_mode_16_64 0
		.amdhsa_float_denorm_mode_32 3
		.amdhsa_float_denorm_mode_16_64 3
		.amdhsa_fp16_overflow 0
		.amdhsa_memory_ordered 1
		.amdhsa_forward_progress 1
		.amdhsa_inst_pref_size 13
		.amdhsa_round_robin_scheduling 0
		.amdhsa_exception_fp_ieee_invalid_op 0
		.amdhsa_exception_fp_denorm_src 0
		.amdhsa_exception_fp_ieee_div_zero 0
		.amdhsa_exception_fp_ieee_overflow 0
		.amdhsa_exception_fp_ieee_underflow 0
		.amdhsa_exception_fp_ieee_inexact 0
		.amdhsa_exception_int_div_zero 0
	.end_amdhsa_kernel
	.section	.text._ZN9rocsparseL29bsrmmnn_small_blockdim_kernelILj64ELj8ELj2EllDF16_DF16_ffEEv20rocsparse_direction_T3_S2_llNS_24const_host_device_scalarIT7_EEPKT2_PKS2_PKT4_PKT5_llS5_PT6_ll16rocsparse_order_21rocsparse_index_base_b,"axG",@progbits,_ZN9rocsparseL29bsrmmnn_small_blockdim_kernelILj64ELj8ELj2EllDF16_DF16_ffEEv20rocsparse_direction_T3_S2_llNS_24const_host_device_scalarIT7_EEPKT2_PKS2_PKT4_PKT5_llS5_PT6_ll16rocsparse_order_21rocsparse_index_base_b,comdat
.Lfunc_end14:
	.size	_ZN9rocsparseL29bsrmmnn_small_blockdim_kernelILj64ELj8ELj2EllDF16_DF16_ffEEv20rocsparse_direction_T3_S2_llNS_24const_host_device_scalarIT7_EEPKT2_PKS2_PKT4_PKT5_llS5_PT6_ll16rocsparse_order_21rocsparse_index_base_b, .Lfunc_end14-_ZN9rocsparseL29bsrmmnn_small_blockdim_kernelILj64ELj8ELj2EllDF16_DF16_ffEEv20rocsparse_direction_T3_S2_llNS_24const_host_device_scalarIT7_EEPKT2_PKS2_PKT4_PKT5_llS5_PT6_ll16rocsparse_order_21rocsparse_index_base_b
                                        ; -- End function
	.set _ZN9rocsparseL29bsrmmnn_small_blockdim_kernelILj64ELj8ELj2EllDF16_DF16_ffEEv20rocsparse_direction_T3_S2_llNS_24const_host_device_scalarIT7_EEPKT2_PKS2_PKT4_PKT5_llS5_PT6_ll16rocsparse_order_21rocsparse_index_base_b.num_vgpr, 45
	.set _ZN9rocsparseL29bsrmmnn_small_blockdim_kernelILj64ELj8ELj2EllDF16_DF16_ffEEv20rocsparse_direction_T3_S2_llNS_24const_host_device_scalarIT7_EEPKT2_PKS2_PKT4_PKT5_llS5_PT6_ll16rocsparse_order_21rocsparse_index_base_b.num_agpr, 0
	.set _ZN9rocsparseL29bsrmmnn_small_blockdim_kernelILj64ELj8ELj2EllDF16_DF16_ffEEv20rocsparse_direction_T3_S2_llNS_24const_host_device_scalarIT7_EEPKT2_PKS2_PKT4_PKT5_llS5_PT6_ll16rocsparse_order_21rocsparse_index_base_b.numbered_sgpr, 29
	.set _ZN9rocsparseL29bsrmmnn_small_blockdim_kernelILj64ELj8ELj2EllDF16_DF16_ffEEv20rocsparse_direction_T3_S2_llNS_24const_host_device_scalarIT7_EEPKT2_PKS2_PKT4_PKT5_llS5_PT6_ll16rocsparse_order_21rocsparse_index_base_b.num_named_barrier, 0
	.set _ZN9rocsparseL29bsrmmnn_small_blockdim_kernelILj64ELj8ELj2EllDF16_DF16_ffEEv20rocsparse_direction_T3_S2_llNS_24const_host_device_scalarIT7_EEPKT2_PKS2_PKT4_PKT5_llS5_PT6_ll16rocsparse_order_21rocsparse_index_base_b.private_seg_size, 0
	.set _ZN9rocsparseL29bsrmmnn_small_blockdim_kernelILj64ELj8ELj2EllDF16_DF16_ffEEv20rocsparse_direction_T3_S2_llNS_24const_host_device_scalarIT7_EEPKT2_PKS2_PKT4_PKT5_llS5_PT6_ll16rocsparse_order_21rocsparse_index_base_b.uses_vcc, 1
	.set _ZN9rocsparseL29bsrmmnn_small_blockdim_kernelILj64ELj8ELj2EllDF16_DF16_ffEEv20rocsparse_direction_T3_S2_llNS_24const_host_device_scalarIT7_EEPKT2_PKS2_PKT4_PKT5_llS5_PT6_ll16rocsparse_order_21rocsparse_index_base_b.uses_flat_scratch, 0
	.set _ZN9rocsparseL29bsrmmnn_small_blockdim_kernelILj64ELj8ELj2EllDF16_DF16_ffEEv20rocsparse_direction_T3_S2_llNS_24const_host_device_scalarIT7_EEPKT2_PKS2_PKT4_PKT5_llS5_PT6_ll16rocsparse_order_21rocsparse_index_base_b.has_dyn_sized_stack, 0
	.set _ZN9rocsparseL29bsrmmnn_small_blockdim_kernelILj64ELj8ELj2EllDF16_DF16_ffEEv20rocsparse_direction_T3_S2_llNS_24const_host_device_scalarIT7_EEPKT2_PKS2_PKT4_PKT5_llS5_PT6_ll16rocsparse_order_21rocsparse_index_base_b.has_recursion, 0
	.set _ZN9rocsparseL29bsrmmnn_small_blockdim_kernelILj64ELj8ELj2EllDF16_DF16_ffEEv20rocsparse_direction_T3_S2_llNS_24const_host_device_scalarIT7_EEPKT2_PKS2_PKT4_PKT5_llS5_PT6_ll16rocsparse_order_21rocsparse_index_base_b.has_indirect_call, 0
	.section	.AMDGPU.csdata,"",@progbits
; Kernel info:
; codeLenInByte = 1612
; TotalNumSgprs: 31
; NumVgprs: 45
; ScratchSize: 0
; MemoryBound: 0
; FloatMode: 240
; IeeeMode: 1
; LDSByteSize: 896 bytes/workgroup (compile time only)
; SGPRBlocks: 0
; VGPRBlocks: 2
; NumSGPRsForWavesPerEU: 31
; NumVGPRsForWavesPerEU: 45
; NamedBarCnt: 0
; Occupancy: 16
; WaveLimiterHint : 1
; COMPUTE_PGM_RSRC2:SCRATCH_EN: 0
; COMPUTE_PGM_RSRC2:USER_SGPR: 2
; COMPUTE_PGM_RSRC2:TRAP_HANDLER: 0
; COMPUTE_PGM_RSRC2:TGID_X_EN: 1
; COMPUTE_PGM_RSRC2:TGID_Y_EN: 1
; COMPUTE_PGM_RSRC2:TGID_Z_EN: 0
; COMPUTE_PGM_RSRC2:TIDIG_COMP_CNT: 0
	.section	.text._ZN9rocsparseL29bsrmmnn_small_blockdim_kernelILj64ELj8ELj2EiiaaiiEEv20rocsparse_direction_T3_S2_llNS_24const_host_device_scalarIT7_EEPKT2_PKS2_PKT4_PKT5_llS5_PT6_ll16rocsparse_order_21rocsparse_index_base_b,"axG",@progbits,_ZN9rocsparseL29bsrmmnn_small_blockdim_kernelILj64ELj8ELj2EiiaaiiEEv20rocsparse_direction_T3_S2_llNS_24const_host_device_scalarIT7_EEPKT2_PKS2_PKT4_PKT5_llS5_PT6_ll16rocsparse_order_21rocsparse_index_base_b,comdat
	.globl	_ZN9rocsparseL29bsrmmnn_small_blockdim_kernelILj64ELj8ELj2EiiaaiiEEv20rocsparse_direction_T3_S2_llNS_24const_host_device_scalarIT7_EEPKT2_PKS2_PKT4_PKT5_llS5_PT6_ll16rocsparse_order_21rocsparse_index_base_b ; -- Begin function _ZN9rocsparseL29bsrmmnn_small_blockdim_kernelILj64ELj8ELj2EiiaaiiEEv20rocsparse_direction_T3_S2_llNS_24const_host_device_scalarIT7_EEPKT2_PKS2_PKT4_PKT5_llS5_PT6_ll16rocsparse_order_21rocsparse_index_base_b
	.p2align	8
	.type	_ZN9rocsparseL29bsrmmnn_small_blockdim_kernelILj64ELj8ELj2EiiaaiiEEv20rocsparse_direction_T3_S2_llNS_24const_host_device_scalarIT7_EEPKT2_PKS2_PKT4_PKT5_llS5_PT6_ll16rocsparse_order_21rocsparse_index_base_b,@function
_ZN9rocsparseL29bsrmmnn_small_blockdim_kernelILj64ELj8ELj2EiiaaiiEEv20rocsparse_direction_T3_S2_llNS_24const_host_device_scalarIT7_EEPKT2_PKS2_PKT4_PKT5_llS5_PT6_ll16rocsparse_order_21rocsparse_index_base_b: ; @_ZN9rocsparseL29bsrmmnn_small_blockdim_kernelILj64ELj8ELj2EiiaaiiEEv20rocsparse_direction_T3_S2_llNS_24const_host_device_scalarIT7_EEPKT2_PKS2_PKT4_PKT5_llS5_PT6_ll16rocsparse_order_21rocsparse_index_base_b
; %bb.0:
	s_clause 0x1
	s_load_b96 s[16:18], s[0:1], 0x78
	s_load_b64 s[4:5], s[0:1], 0x20
	s_mov_b32 s7, -1
	s_wait_kmcnt 0x0
	s_bitcmp1_b32 s18, 0
                                        ; implicit-def: $sgpr18
	s_cselect_b32 s2, -1, 0
	s_delay_alu instid0(SALU_CYCLE_1) | instskip(NEXT) | instid1(SALU_CYCLE_1)
	s_xor_b32 s6, s2, -1
	s_and_b32 vcc_lo, exec_lo, s6
	s_cbranch_vccnz .LBB15_4
; %bb.1:
	s_load_b64 s[2:3], s[0:1], 0x58
	s_and_not1_b32 vcc_lo, exec_lo, s7
	s_cbranch_vccz .LBB15_5
.LBB15_2:
	s_and_b32 vcc_lo, exec_lo, s6
	s_cbranch_vccz .LBB15_6
.LBB15_3:
	s_wait_kmcnt 0x0
	s_load_b32 s19, s[2:3], 0x0
	s_wait_xcnt 0x0
	s_cbranch_execz .LBB15_7
	s_branch .LBB15_8
.LBB15_4:
	s_load_b32 s18, s[4:5], 0x0
	s_load_b64 s[2:3], s[0:1], 0x58
	s_cbranch_execnz .LBB15_2
.LBB15_5:
	s_wait_kmcnt 0x0
	s_mov_b32 s18, s4
	s_and_b32 vcc_lo, exec_lo, s6
	s_cbranch_vccnz .LBB15_3
.LBB15_6:
	s_wait_kmcnt 0x0
                                        ; implicit-def: $sgpr19
.LBB15_7:
	s_wait_kmcnt 0x0
	s_mov_b32 s19, s2
.LBB15_8:
	s_cmp_eq_u32 s18, 0
	s_cselect_b32 s2, -1, 0
	s_wait_kmcnt 0x0
	s_cmp_eq_u32 s19, 1
	s_cselect_b32 s3, -1, 0
	s_delay_alu instid0(SALU_CYCLE_1)
	s_and_b32 s2, s2, s3
	s_mov_b32 s3, 0
	s_and_b32 vcc_lo, exec_lo, s2
	s_cbranch_vccnz .LBB15_32
; %bb.9:
	s_load_b32 s4, s[0:1], 0x88
	s_bfe_u32 s2, ttmp6, 0x4000c
	s_and_b32 s6, ttmp6, 15
	s_add_co_i32 s2, s2, 1
	s_getreg_b32 s5, hwreg(HW_REG_IB_STS2, 6, 4)
	s_mul_i32 s2, ttmp9, s2
	s_delay_alu instid0(SALU_CYCLE_1)
	s_add_co_i32 s6, s6, s2
	s_cmp_eq_u32 s5, 0
	s_cselect_b32 s8, ttmp9, s6
	s_add_nc_u64 s[6:7], s[0:1], 0x88
	s_wait_kmcnt 0x0
	s_cmp_lt_u32 s8, s4
	s_cselect_b32 s2, 12, 18
	s_delay_alu instid0(SALU_CYCLE_1)
	s_add_nc_u64 s[6:7], s[6:7], s[2:3]
	s_mov_b32 s3, exec_lo
	s_load_u16 s2, s[6:7], 0x0
	s_load_b96 s[20:22], s[0:1], 0x0
	s_wait_kmcnt 0x0
	v_mad_u32 v1, s8, s2, v0
	s_delay_alu instid0(VALU_DEP_1) | instskip(NEXT) | instid1(VALU_DEP_1)
	v_lshrrev_b32_e32 v2, 4, v1
	v_cmpx_gt_i32_e64 s21, v2
	s_cbranch_execz .LBB15_32
; %bb.10:
	s_bfe_u32 s3, ttmp6, 0x40010
	s_load_b128 s[12:15], s[0:1], 0x60
	s_add_co_i32 s3, s3, 1
	s_mul_i32 s4, s4, s2
	s_mul_i32 s3, ttmp7, s3
	s_bfe_u32 s6, ttmp6, 0x40004
	v_dual_mov_b32 v3, 0 :: v_dual_bitop2_b32 v10, 7, v1 bitop3:0x40
	s_lshr_b32 s2, s4, 4
	s_add_co_i32 s6, s6, s3
	s_cmp_eq_u32 s5, 0
	s_delay_alu instid0(VALU_DEP_1)
	v_dual_mov_b32 v9, v3 :: v_dual_lshrrev_b32 v0, 3, v0
	s_cselect_b32 s3, ttmp7, s6
	s_load_b256 s[4:11], s[0:1], 0x28
	v_lshl_or_b32 v6, s3, 3, v10
	s_wait_xcnt 0x0
	s_load_b64 s[0:1], s[0:1], 0x48
	v_lshrrev_b32_e32 v8, 3, v1
	v_bfe_u32 v1, v1, 3, 1
	s_cmp_eq_u32 s20, 0
	v_dual_ashrrev_i32 v7, 31, v6 :: v_dual_lshlrev_b32 v11, 5, v0
	s_wait_kmcnt 0x0
	v_mul_u64_e32 v[18:19], s[14:15], v[8:9]
	v_or_b32_e32 v15, 2, v1
	v_mul_u32_u24_e32 v0, 24, v0
	v_mul_u64_e32 v[16:17], s[14:15], v[6:7]
	v_dual_lshlrev_b32 v14, 1, v1 :: v_dual_lshlrev_b32 v8, 2, v8
	s_cselect_b32 vcc_lo, -1, 0
	v_mul_u32_u24_e32 v20, 3, v10
	v_or_b32_e32 v13, 0x100, v0
	s_delay_alu instid0(VALU_DEP_3)
	v_dual_cndmask_b32 v14, v1, v14, vcc_lo :: v_dual_bitop2_b32 v21, 1, v14 bitop3:0x54
	v_lshl_add_u64 v[0:1], v[6:7], 2, s[12:13]
	s_cmp_lg_u32 s19, 0
	v_lshl_or_b32 v12, v10, 2, v11
	v_mad_nc_u64_u32 v[4:5], s0, v6, s[10:11]
	v_cndmask_b32_e32 v15, v15, v21, vcc_lo
	s_mov_b32 s3, 0
	s_delay_alu instid0(VALU_DEP_2)
	v_mad_u32 v5, s1, v6, v5
	s_cselect_b32 s1, -1, 0
	s_cmp_lg_u32 s16, 1
	s_cselect_b32 s10, -1, 0
	v_lshl_add_u64 v[0:1], v[18:19], 2, v[0:1]
	v_lshl_add_u64 v[16:17], v[16:17], 2, s[12:13]
	s_delay_alu instid0(VALU_DEP_3) | instskip(SKIP_1) | instid1(VALU_DEP_3)
	v_mad_u32 v5, s0, v7, v5
	v_cmp_gt_i32_e64 s0, s22, v6
	v_add_nc_u64_e32 v[6:7], v[16:17], v[8:9]
	v_subrev_nc_u32_e32 v16, s17, v10
	v_add_nc_u32_e32 v17, v13, v20
	s_branch .LBB15_12
.LBB15_11:                              ;   in Loop: Header=BB15_12 Depth=1
	s_wait_xcnt 0x0
	s_or_b32 exec_lo, exec_lo, s11
	v_add_nc_u32_e32 v2, s2, v2
	s_delay_alu instid0(VALU_DEP_1) | instskip(SKIP_1) | instid1(SALU_CYCLE_1)
	v_cmp_le_i32_e32 vcc_lo, s21, v2
	s_or_b32 s3, vcc_lo, s3
	s_and_not1_b32 exec_lo, exec_lo, s3
	s_cbranch_execz .LBB15_32
.LBB15_12:                              ; =>This Loop Header: Depth=1
                                        ;     Child Loop BB15_15 Depth 2
	v_lshl_add_u64 v[8:9], v[2:3], 2, s[4:5]
	v_mov_b32_e32 v18, 0
	s_mov_b32 s11, exec_lo
	global_load_b64 v[8:9], v[8:9], off
	s_wait_loadcnt 0x0
	s_wait_xcnt 0x0
	v_cmpx_lt_i32_e64 v8, v9
	s_cbranch_execz .LBB15_20
; %bb.13:                               ;   in Loop: Header=BB15_12 Depth=1
	v_add_lshl_u32 v18, v16, v8, 2
	v_subrev_nc_u32_e32 v9, s17, v9
	v_subrev_nc_u32_e32 v8, s17, v8
	s_mov_b32 s12, 0
	s_delay_alu instid0(VALU_DEP_3)
	v_or_b32_e32 v19, v15, v18
	v_dual_mov_b32 v18, 0 :: v_dual_bitop2_b32 v20, v14, v18 bitop3:0x54
	s_branch .LBB15_15
.LBB15_14:                              ;   in Loop: Header=BB15_15 Depth=2
	s_or_b32 exec_lo, exec_lo, s13
	v_dual_add_nc_u32 v8, 8, v8 :: v_dual_add_nc_u32 v19, 32, v19
	v_add_nc_u32_e32 v20, 32, v20
	s_delay_alu instid0(VALU_DEP_2) | instskip(SKIP_1) | instid1(SALU_CYCLE_1)
	v_cmp_ge_i32_e32 vcc_lo, v8, v9
	s_or_b32 s12, vcc_lo, s12
	s_and_not1_b32 exec_lo, exec_lo, s12
	s_cbranch_execz .LBB15_19
.LBB15_15:                              ;   Parent Loop BB15_12 Depth=1
                                        ; =>  This Inner Loop Header: Depth=2
	v_dual_mov_b32 v23, 0 :: v_dual_add_nc_u32 v24, v10, v8
	v_dual_mov_b32 v21, 0 :: v_dual_mov_b32 v22, 0
	s_mov_b32 s13, exec_lo
	s_delay_alu instid0(VALU_DEP_2)
	v_cmpx_lt_i32_e64 v24, v9
	s_cbranch_execz .LBB15_17
; %bb.16:                               ;   in Loop: Header=BB15_15 Depth=2
	global_load_b32 v23, v24, s[6:7] scale_offset
	s_clause 0x1
	global_load_u8 v21, v20, s[8:9]
	global_load_u8 v22, v19, s[8:9]
	s_wait_loadcnt 0x2
	v_subrev_nc_u32_e32 v23, s17, v23
	s_delay_alu instid0(VALU_DEP_1)
	v_lshlrev_b32_e32 v23, 1, v23
.LBB15_17:                              ;   in Loop: Header=BB15_15 Depth=2
	s_wait_xcnt 0x0
	s_or_b32 exec_lo, exec_lo, s13
	ds_store_b32 v12, v23
	s_wait_loadcnt 0x1
	ds_store_b8 v17, v21
	s_wait_loadcnt 0x0
	ds_store_b8 v17, v22 offset:1
	s_wait_dscnt 0x0
	s_barrier_signal -1
	s_barrier_wait -1
	s_and_saveexec_b32 s13, s0
	s_cbranch_execz .LBB15_14
; %bb.18:                               ;   in Loop: Header=BB15_15 Depth=2
	ds_load_b128 v[22:25], v11
	ds_load_b128 v[26:29], v11 offset:16
	s_wait_dscnt 0x1
	v_dual_mov_b32 v30, v22 :: v_dual_ashrrev_i32 v31, 31, v22
	v_dual_mov_b32 v32, v23 :: v_dual_ashrrev_i32 v33, 31, v23
	;; [unrolled: 1-line block ×3, first 2 shown]
	s_delay_alu instid0(VALU_DEP_3) | instskip(SKIP_1) | instid1(VALU_DEP_4)
	v_add_nc_u64_e32 v[30:31], v[4:5], v[30:31]
	v_dual_mov_b32 v34, v25 :: v_dual_ashrrev_i32 v35, 31, v25
	v_add_nc_u64_e32 v[32:33], v[4:5], v[32:33]
	s_delay_alu instid0(VALU_DEP_4)
	v_add_nc_u64_e32 v[22:23], v[4:5], v[22:23]
	s_wait_dscnt 0x0
	v_dual_mov_b32 v24, v26 :: v_dual_ashrrev_i32 v25, 31, v26
	v_add_nc_u64_e32 v[34:35], v[4:5], v[34:35]
	s_clause 0x1
	global_load_u16 v21, v[30:31], off
	global_load_u16 v40, v[32:33], off
	v_dual_mov_b32 v36, v27 :: v_dual_ashrrev_i32 v37, 31, v27
	v_dual_mov_b32 v26, v28 :: v_dual_ashrrev_i32 v27, 31, v28
	;; [unrolled: 1-line block ×3, first 2 shown]
	v_add_nc_u64_e32 v[24:25], v[4:5], v[24:25]
	s_clause 0x1
	global_load_u16 v30, v[22:23], off
	global_load_u16 v31, v[34:35], off
	v_add_nc_u64_e32 v[28:29], v[4:5], v[36:37]
	s_wait_xcnt 0x1
	v_add_nc_u64_e32 v[22:23], v[4:5], v[26:27]
	v_add_nc_u64_e32 v[26:27], v[4:5], v[38:39]
	s_clause 0x3
	global_load_u16 v32, v[24:25], off
	global_load_u16 v33, v[28:29], off
	;; [unrolled: 1-line block ×4, first 2 shown]
	s_wait_xcnt 0x1
	ds_load_u16 v22, v13
	ds_load_i8 v23, v13 offset:3
	ds_load_i8 v24, v13 offset:4
	ds_load_u16 v25, v13 offset:6
	s_wait_xcnt 0x0
	ds_load_u16 v26, v13 offset:9
	ds_load_u16 v27, v13 offset:12
	;; [unrolled: 1-line block ×4, first 2 shown]
	s_wait_dscnt 0x7
	v_perm_b32 v22, v22, v22, 0xc0c0100
	s_wait_dscnt 0x5
	v_perm_b32 v23, v24, v23, 0x4000c0c
	ds_load_u16 v24, v13 offset:21
	v_or_b32_e32 v22, v23, v22
	s_wait_dscnt 0x4
	v_perm_b32 v23, v26, v25, 0x5040100
	s_wait_loadcnt 0x6
	v_perm_b32 v21, v40, v21, 0x5040100
	s_delay_alu instid0(VALU_DEP_1)
	v_dot4_i32_iu8 v18, v21, v22, v18 neg_lo:[1,1,0]
	s_wait_dscnt 0x2
	v_perm_b32 v21, v28, v27, 0x5040100
	s_wait_loadcnt 0x4
	v_perm_b32 v25, v31, v30, 0x5040100
	s_wait_loadcnt 0x2
	v_perm_b32 v22, v33, v32, 0x5040100
	s_delay_alu instid0(VALU_DEP_2) | instskip(SKIP_2) | instid1(VALU_DEP_2)
	v_dot4_i32_iu8 v18, v25, v23, v18 neg_lo:[1,1,0]
	s_wait_loadcnt 0x0
	v_perm_b32 v23, v35, v34, 0x5040100
	v_dot4_i32_iu8 v18, v22, v21, v18 neg_lo:[1,1,0]
	s_wait_dscnt 0x0
	v_perm_b32 v21, v24, v29, 0x5040100
	s_delay_alu instid0(VALU_DEP_1)
	v_dot4_i32_iu8 v18, v23, v21, v18 neg_lo:[1,1,0]
	s_branch .LBB15_14
.LBB15_19:                              ;   in Loop: Header=BB15_12 Depth=1
	s_or_b32 exec_lo, exec_lo, s12
.LBB15_20:                              ;   in Loop: Header=BB15_12 Depth=1
	s_delay_alu instid0(SALU_CYCLE_1)
	s_or_b32 exec_lo, exec_lo, s11
	s_and_saveexec_b32 s11, s0
	s_cbranch_execz .LBB15_11
; %bb.21:                               ;   in Loop: Header=BB15_12 Depth=1
	v_mul_lo_u32 v8, v18, s18
	s_and_b32 vcc_lo, exec_lo, s1
	s_cbranch_vccz .LBB15_27
; %bb.22:                               ;   in Loop: Header=BB15_12 Depth=1
	s_and_b32 vcc_lo, exec_lo, s10
	s_mov_b32 s12, -1
	s_cbranch_vccz .LBB15_24
; %bb.23:                               ;   in Loop: Header=BB15_12 Depth=1
	global_load_b32 v9, v[0:1], off
	s_mov_b32 s12, 0
	s_wait_loadcnt 0x0
	v_mad_u32 v9, v9, s19, v8
	global_store_b32 v[0:1], v9, off
.LBB15_24:                              ;   in Loop: Header=BB15_12 Depth=1
	s_and_not1_b32 vcc_lo, exec_lo, s12
	s_cbranch_vccnz .LBB15_26
; %bb.25:                               ;   in Loop: Header=BB15_12 Depth=1
	global_load_b32 v9, v[6:7], off
	s_wait_loadcnt 0x0
	v_mad_u32 v9, v9, s19, v8
	global_store_b32 v[6:7], v9, off
.LBB15_26:                              ;   in Loop: Header=BB15_12 Depth=1
	s_cbranch_execnz .LBB15_11
	s_branch .LBB15_28
.LBB15_27:                              ;   in Loop: Header=BB15_12 Depth=1
.LBB15_28:                              ;   in Loop: Header=BB15_12 Depth=1
	s_and_b32 vcc_lo, exec_lo, s10
	s_mov_b32 s12, -1
	s_cbranch_vccz .LBB15_30
; %bb.29:                               ;   in Loop: Header=BB15_12 Depth=1
	s_mov_b32 s12, 0
	global_store_b32 v[0:1], v8, off
.LBB15_30:                              ;   in Loop: Header=BB15_12 Depth=1
	s_and_not1_b32 vcc_lo, exec_lo, s12
	s_cbranch_vccnz .LBB15_11
; %bb.31:                               ;   in Loop: Header=BB15_12 Depth=1
	global_store_b32 v[6:7], v8, off
	s_branch .LBB15_11
.LBB15_32:
	s_endpgm
	.section	.rodata,"a",@progbits
	.p2align	6, 0x0
	.amdhsa_kernel _ZN9rocsparseL29bsrmmnn_small_blockdim_kernelILj64ELj8ELj2EiiaaiiEEv20rocsparse_direction_T3_S2_llNS_24const_host_device_scalarIT7_EEPKT2_PKS2_PKT4_PKT5_llS5_PT6_ll16rocsparse_order_21rocsparse_index_base_b
		.amdhsa_group_segment_fixed_size 448
		.amdhsa_private_segment_fixed_size 0
		.amdhsa_kernarg_size 392
		.amdhsa_user_sgpr_count 2
		.amdhsa_user_sgpr_dispatch_ptr 0
		.amdhsa_user_sgpr_queue_ptr 0
		.amdhsa_user_sgpr_kernarg_segment_ptr 1
		.amdhsa_user_sgpr_dispatch_id 0
		.amdhsa_user_sgpr_kernarg_preload_length 0
		.amdhsa_user_sgpr_kernarg_preload_offset 0
		.amdhsa_user_sgpr_private_segment_size 0
		.amdhsa_wavefront_size32 1
		.amdhsa_uses_dynamic_stack 0
		.amdhsa_enable_private_segment 0
		.amdhsa_system_sgpr_workgroup_id_x 1
		.amdhsa_system_sgpr_workgroup_id_y 1
		.amdhsa_system_sgpr_workgroup_id_z 0
		.amdhsa_system_sgpr_workgroup_info 0
		.amdhsa_system_vgpr_workitem_id 0
		.amdhsa_next_free_vgpr 41
		.amdhsa_next_free_sgpr 23
		.amdhsa_named_barrier_count 0
		.amdhsa_reserve_vcc 1
		.amdhsa_float_round_mode_32 0
		.amdhsa_float_round_mode_16_64 0
		.amdhsa_float_denorm_mode_32 3
		.amdhsa_float_denorm_mode_16_64 3
		.amdhsa_fp16_overflow 0
		.amdhsa_memory_ordered 1
		.amdhsa_forward_progress 1
		.amdhsa_inst_pref_size 13
		.amdhsa_round_robin_scheduling 0
		.amdhsa_exception_fp_ieee_invalid_op 0
		.amdhsa_exception_fp_denorm_src 0
		.amdhsa_exception_fp_ieee_div_zero 0
		.amdhsa_exception_fp_ieee_overflow 0
		.amdhsa_exception_fp_ieee_underflow 0
		.amdhsa_exception_fp_ieee_inexact 0
		.amdhsa_exception_int_div_zero 0
	.end_amdhsa_kernel
	.section	.text._ZN9rocsparseL29bsrmmnn_small_blockdim_kernelILj64ELj8ELj2EiiaaiiEEv20rocsparse_direction_T3_S2_llNS_24const_host_device_scalarIT7_EEPKT2_PKS2_PKT4_PKT5_llS5_PT6_ll16rocsparse_order_21rocsparse_index_base_b,"axG",@progbits,_ZN9rocsparseL29bsrmmnn_small_blockdim_kernelILj64ELj8ELj2EiiaaiiEEv20rocsparse_direction_T3_S2_llNS_24const_host_device_scalarIT7_EEPKT2_PKS2_PKT4_PKT5_llS5_PT6_ll16rocsparse_order_21rocsparse_index_base_b,comdat
.Lfunc_end15:
	.size	_ZN9rocsparseL29bsrmmnn_small_blockdim_kernelILj64ELj8ELj2EiiaaiiEEv20rocsparse_direction_T3_S2_llNS_24const_host_device_scalarIT7_EEPKT2_PKS2_PKT4_PKT5_llS5_PT6_ll16rocsparse_order_21rocsparse_index_base_b, .Lfunc_end15-_ZN9rocsparseL29bsrmmnn_small_blockdim_kernelILj64ELj8ELj2EiiaaiiEEv20rocsparse_direction_T3_S2_llNS_24const_host_device_scalarIT7_EEPKT2_PKS2_PKT4_PKT5_llS5_PT6_ll16rocsparse_order_21rocsparse_index_base_b
                                        ; -- End function
	.set _ZN9rocsparseL29bsrmmnn_small_blockdim_kernelILj64ELj8ELj2EiiaaiiEEv20rocsparse_direction_T3_S2_llNS_24const_host_device_scalarIT7_EEPKT2_PKS2_PKT4_PKT5_llS5_PT6_ll16rocsparse_order_21rocsparse_index_base_b.num_vgpr, 41
	.set _ZN9rocsparseL29bsrmmnn_small_blockdim_kernelILj64ELj8ELj2EiiaaiiEEv20rocsparse_direction_T3_S2_llNS_24const_host_device_scalarIT7_EEPKT2_PKS2_PKT4_PKT5_llS5_PT6_ll16rocsparse_order_21rocsparse_index_base_b.num_agpr, 0
	.set _ZN9rocsparseL29bsrmmnn_small_blockdim_kernelILj64ELj8ELj2EiiaaiiEEv20rocsparse_direction_T3_S2_llNS_24const_host_device_scalarIT7_EEPKT2_PKS2_PKT4_PKT5_llS5_PT6_ll16rocsparse_order_21rocsparse_index_base_b.numbered_sgpr, 23
	.set _ZN9rocsparseL29bsrmmnn_small_blockdim_kernelILj64ELj8ELj2EiiaaiiEEv20rocsparse_direction_T3_S2_llNS_24const_host_device_scalarIT7_EEPKT2_PKS2_PKT4_PKT5_llS5_PT6_ll16rocsparse_order_21rocsparse_index_base_b.num_named_barrier, 0
	.set _ZN9rocsparseL29bsrmmnn_small_blockdim_kernelILj64ELj8ELj2EiiaaiiEEv20rocsparse_direction_T3_S2_llNS_24const_host_device_scalarIT7_EEPKT2_PKS2_PKT4_PKT5_llS5_PT6_ll16rocsparse_order_21rocsparse_index_base_b.private_seg_size, 0
	.set _ZN9rocsparseL29bsrmmnn_small_blockdim_kernelILj64ELj8ELj2EiiaaiiEEv20rocsparse_direction_T3_S2_llNS_24const_host_device_scalarIT7_EEPKT2_PKS2_PKT4_PKT5_llS5_PT6_ll16rocsparse_order_21rocsparse_index_base_b.uses_vcc, 1
	.set _ZN9rocsparseL29bsrmmnn_small_blockdim_kernelILj64ELj8ELj2EiiaaiiEEv20rocsparse_direction_T3_S2_llNS_24const_host_device_scalarIT7_EEPKT2_PKS2_PKT4_PKT5_llS5_PT6_ll16rocsparse_order_21rocsparse_index_base_b.uses_flat_scratch, 0
	.set _ZN9rocsparseL29bsrmmnn_small_blockdim_kernelILj64ELj8ELj2EiiaaiiEEv20rocsparse_direction_T3_S2_llNS_24const_host_device_scalarIT7_EEPKT2_PKS2_PKT4_PKT5_llS5_PT6_ll16rocsparse_order_21rocsparse_index_base_b.has_dyn_sized_stack, 0
	.set _ZN9rocsparseL29bsrmmnn_small_blockdim_kernelILj64ELj8ELj2EiiaaiiEEv20rocsparse_direction_T3_S2_llNS_24const_host_device_scalarIT7_EEPKT2_PKS2_PKT4_PKT5_llS5_PT6_ll16rocsparse_order_21rocsparse_index_base_b.has_recursion, 0
	.set _ZN9rocsparseL29bsrmmnn_small_blockdim_kernelILj64ELj8ELj2EiiaaiiEEv20rocsparse_direction_T3_S2_llNS_24const_host_device_scalarIT7_EEPKT2_PKS2_PKT4_PKT5_llS5_PT6_ll16rocsparse_order_21rocsparse_index_base_b.has_indirect_call, 0
	.section	.AMDGPU.csdata,"",@progbits
; Kernel info:
; codeLenInByte = 1652
; TotalNumSgprs: 25
; NumVgprs: 41
; ScratchSize: 0
; MemoryBound: 0
; FloatMode: 240
; IeeeMode: 1
; LDSByteSize: 448 bytes/workgroup (compile time only)
; SGPRBlocks: 0
; VGPRBlocks: 2
; NumSGPRsForWavesPerEU: 25
; NumVGPRsForWavesPerEU: 41
; NamedBarCnt: 0
; Occupancy: 16
; WaveLimiterHint : 0
; COMPUTE_PGM_RSRC2:SCRATCH_EN: 0
; COMPUTE_PGM_RSRC2:USER_SGPR: 2
; COMPUTE_PGM_RSRC2:TRAP_HANDLER: 0
; COMPUTE_PGM_RSRC2:TGID_X_EN: 1
; COMPUTE_PGM_RSRC2:TGID_Y_EN: 1
; COMPUTE_PGM_RSRC2:TGID_Z_EN: 0
; COMPUTE_PGM_RSRC2:TIDIG_COMP_CNT: 0
	.section	.text._ZN9rocsparseL29bsrmmnn_small_blockdim_kernelILj64ELj8ELj2EliaaiiEEv20rocsparse_direction_T3_S2_llNS_24const_host_device_scalarIT7_EEPKT2_PKS2_PKT4_PKT5_llS5_PT6_ll16rocsparse_order_21rocsparse_index_base_b,"axG",@progbits,_ZN9rocsparseL29bsrmmnn_small_blockdim_kernelILj64ELj8ELj2EliaaiiEEv20rocsparse_direction_T3_S2_llNS_24const_host_device_scalarIT7_EEPKT2_PKS2_PKT4_PKT5_llS5_PT6_ll16rocsparse_order_21rocsparse_index_base_b,comdat
	.globl	_ZN9rocsparseL29bsrmmnn_small_blockdim_kernelILj64ELj8ELj2EliaaiiEEv20rocsparse_direction_T3_S2_llNS_24const_host_device_scalarIT7_EEPKT2_PKS2_PKT4_PKT5_llS5_PT6_ll16rocsparse_order_21rocsparse_index_base_b ; -- Begin function _ZN9rocsparseL29bsrmmnn_small_blockdim_kernelILj64ELj8ELj2EliaaiiEEv20rocsparse_direction_T3_S2_llNS_24const_host_device_scalarIT7_EEPKT2_PKS2_PKT4_PKT5_llS5_PT6_ll16rocsparse_order_21rocsparse_index_base_b
	.p2align	8
	.type	_ZN9rocsparseL29bsrmmnn_small_blockdim_kernelILj64ELj8ELj2EliaaiiEEv20rocsparse_direction_T3_S2_llNS_24const_host_device_scalarIT7_EEPKT2_PKS2_PKT4_PKT5_llS5_PT6_ll16rocsparse_order_21rocsparse_index_base_b,@function
_ZN9rocsparseL29bsrmmnn_small_blockdim_kernelILj64ELj8ELj2EliaaiiEEv20rocsparse_direction_T3_S2_llNS_24const_host_device_scalarIT7_EEPKT2_PKS2_PKT4_PKT5_llS5_PT6_ll16rocsparse_order_21rocsparse_index_base_b: ; @_ZN9rocsparseL29bsrmmnn_small_blockdim_kernelILj64ELj8ELj2EliaaiiEEv20rocsparse_direction_T3_S2_llNS_24const_host_device_scalarIT7_EEPKT2_PKS2_PKT4_PKT5_llS5_PT6_ll16rocsparse_order_21rocsparse_index_base_b
; %bb.0:
	s_clause 0x1
	s_load_b96 s[16:18], s[0:1], 0x78
	s_load_b64 s[4:5], s[0:1], 0x20
	s_mov_b32 s7, -1
	s_wait_kmcnt 0x0
	s_bitcmp1_b32 s18, 0
                                        ; implicit-def: $sgpr18
	s_cselect_b32 s2, -1, 0
	s_delay_alu instid0(SALU_CYCLE_1) | instskip(NEXT) | instid1(SALU_CYCLE_1)
	s_xor_b32 s6, s2, -1
	s_and_b32 vcc_lo, exec_lo, s6
	s_cbranch_vccnz .LBB16_4
; %bb.1:
	s_load_b64 s[2:3], s[0:1], 0x58
	s_and_not1_b32 vcc_lo, exec_lo, s7
	s_cbranch_vccz .LBB16_5
.LBB16_2:
	s_and_b32 vcc_lo, exec_lo, s6
	s_cbranch_vccz .LBB16_6
.LBB16_3:
	s_wait_kmcnt 0x0
	s_load_b32 s19, s[2:3], 0x0
	s_wait_xcnt 0x0
	s_cbranch_execz .LBB16_7
	s_branch .LBB16_8
.LBB16_4:
	s_load_b32 s18, s[4:5], 0x0
	s_load_b64 s[2:3], s[0:1], 0x58
	s_cbranch_execnz .LBB16_2
.LBB16_5:
	s_wait_kmcnt 0x0
	s_mov_b32 s18, s4
	s_and_b32 vcc_lo, exec_lo, s6
	s_cbranch_vccnz .LBB16_3
.LBB16_6:
	s_wait_kmcnt 0x0
                                        ; implicit-def: $sgpr19
.LBB16_7:
	s_wait_kmcnt 0x0
	s_mov_b32 s19, s2
.LBB16_8:
	s_cmp_eq_u32 s18, 0
	s_cselect_b32 s2, -1, 0
	s_wait_kmcnt 0x0
	s_cmp_eq_u32 s19, 1
	s_cselect_b32 s3, -1, 0
	s_delay_alu instid0(SALU_CYCLE_1)
	s_and_b32 s2, s2, s3
	s_mov_b32 s3, 0
	s_and_b32 vcc_lo, exec_lo, s2
	s_cbranch_vccnz .LBB16_32
; %bb.9:
	s_load_b32 s5, s[0:1], 0x88
	s_bfe_u32 s2, ttmp6, 0x4000c
	s_and_b32 s6, ttmp6, 15
	s_add_co_i32 s2, s2, 1
	s_getreg_b32 s4, hwreg(HW_REG_IB_STS2, 6, 4)
	s_mul_i32 s2, ttmp9, s2
	s_delay_alu instid0(SALU_CYCLE_1)
	s_add_co_i32 s6, s6, s2
	s_cmp_eq_u32 s4, 0
	s_cselect_b32 s8, ttmp9, s6
	s_add_nc_u64 s[6:7], s[0:1], 0x88
	s_wait_kmcnt 0x0
	s_cmp_lt_u32 s8, s5
	s_cselect_b32 s2, 12, 18
	s_delay_alu instid0(SALU_CYCLE_1)
	s_add_nc_u64 s[6:7], s[6:7], s[2:3]
	s_mov_b32 s3, exec_lo
	s_load_u16 s2, s[6:7], 0x0
	s_load_b96 s[20:22], s[0:1], 0x0
	s_wait_kmcnt 0x0
	v_mad_u32 v1, s8, s2, v0
	s_delay_alu instid0(VALU_DEP_1) | instskip(NEXT) | instid1(VALU_DEP_1)
	v_lshrrev_b32_e32 v4, 4, v1
	v_cmpx_gt_i32_e64 s21, v4
	s_cbranch_execz .LBB16_32
; %bb.10:
	s_bfe_u32 s3, ttmp6, 0x40010
	s_load_b128 s[12:15], s[0:1], 0x60
	s_add_co_i32 s3, s3, 1
	s_mul_i32 s5, s5, s2
	s_mul_i32 s2, ttmp7, s3
	s_bfe_u32 s3, ttmp6, 0x40004
	s_lshr_b32 s23, s5, 4
	v_dual_mov_b32 v5, 0 :: v_dual_bitop2_b32 v6, 7, v1 bitop3:0x40
	s_add_co_i32 s3, s3, s2
	s_cmp_eq_u32 s4, 0
	s_clause 0x1
	s_load_b256 s[4:11], s[0:1], 0x28
	s_load_b64 s[24:25], s[0:1], 0x48
	s_cselect_b32 s2, ttmp7, s3
	v_dual_mov_b32 v11, v5 :: v_dual_lshrrev_b32 v0, 3, v0
	v_lshl_or_b32 v2, s2, 3, v6
	v_lshrrev_b32_e32 v10, 3, v1
	s_cmp_lg_u32 s19, 0
	v_bfe_u32 v16, v1, 3, 1
	s_wait_xcnt 0x0
	s_cselect_b32 s1, -1, 0
	v_ashrrev_i32_e32 v3, 31, v2
	s_wait_kmcnt 0x0
	v_mul_u64_e32 v[14:15], s[14:15], v[10:11]
	s_cmp_lg_u32 s16, 1
	v_mul_u32_u24_e32 v11, 24, v0
	v_dual_mov_b32 v7, v5 :: v_dual_lshlrev_b32 v22, 5, v0
	v_mul_u64_e32 v[12:13], s[14:15], v[2:3]
	v_dual_mov_b32 v1, v5 :: v_dual_lshlrev_b32 v0, 2, v10
	v_lshl_add_u64 v[18:19], v[2:3], 2, s[12:13]
	v_mul_u32_u24_e32 v25, 3, v6
	v_mad_nc_u64_u32 v[8:9], s24, v2, s[10:11]
	s_cselect_b32 s10, -1, 0
	s_cmp_eq_u32 s20, 0
	v_or_b32_e32 v24, 0x100, v11
	s_cselect_b32 s11, -1, 0
	s_mov_b32 s3, 0
	v_cndmask_b32_e64 v26, 0, 1, s11
	v_mov_b32_e32 v17, v5
	s_mov_b32 s2, s17
	v_lshl_or_b32 v23, v6, 2, v22
	v_sub_nc_u64_e64 v[10:11], v[6:7], s[2:3]
	v_mad_u32 v9, s25, v2, v9
	v_lshlrev_b32_e32 v16, v26, v16
	v_cmp_gt_i32_e64 s0, s22, v2
	v_add_nc_u32_e32 v25, v24, v25
	s_delay_alu instid0(VALU_DEP_3)
	v_add_nc_u64_e32 v[16:17], s[8:9], v[16:17]
	s_and_b32 s8, s11, exec_lo
	s_cselect_b32 s8, 1, 2
	s_mov_b32 s9, s3
	s_mov_b32 s11, s3
	v_mad_u32 v9, s24, v3, v9
	v_lshl_add_u64 v[20:21], v[12:13], 2, s[12:13]
	v_lshl_add_u64 v[12:13], v[14:15], 2, v[18:19]
	s_delay_alu instid0(VALU_DEP_2)
	v_add_nc_u64_e32 v[14:15], v[20:21], v[0:1]
	s_branch .LBB16_12
.LBB16_11:                              ;   in Loop: Header=BB16_12 Depth=1
	s_wait_xcnt 0x0
	s_or_b32 exec_lo, exec_lo, s12
	v_add_nc_u32_e32 v4, s23, v4
	s_delay_alu instid0(VALU_DEP_1) | instskip(SKIP_1) | instid1(SALU_CYCLE_1)
	v_cmp_le_i32_e32 vcc_lo, s21, v4
	s_or_b32 s11, vcc_lo, s11
	s_and_not1_b32 exec_lo, exec_lo, s11
	s_cbranch_execz .LBB16_32
.LBB16_12:                              ; =>This Loop Header: Depth=1
                                        ;     Child Loop BB16_15 Depth 2
	v_lshl_add_u64 v[0:1], v[4:5], 3, s[4:5]
	v_mov_b32_e32 v26, 0
	s_mov_b32 s12, exec_lo
	global_load_b128 v[0:3], v[0:1], off
	s_wait_loadcnt 0x0
	s_wait_xcnt 0x0
	v_cmpx_lt_i64_e64 v[0:1], v[2:3]
	s_cbranch_execz .LBB16_20
; %bb.13:                               ;   in Loop: Header=BB16_12 Depth=1
	v_add_nc_u64_e32 v[18:19], v[10:11], v[0:1]
	v_sub_nc_u64_e64 v[2:3], v[2:3], s[2:3]
	v_sub_nc_u64_e64 v[0:1], v[0:1], s[2:3]
	v_mov_b32_e32 v26, 0
	s_mov_b32 s13, 0
	s_delay_alu instid0(VALU_DEP_4) | instskip(NEXT) | instid1(VALU_DEP_1)
	v_lshlrev_b64_e32 v[20:21], 2, v[18:19]
	v_add_nc_u64_e32 v[18:19], s[6:7], v[20:21]
	v_add_nc_u64_e32 v[20:21], v[16:17], v[20:21]
	s_branch .LBB16_15
.LBB16_14:                              ;   in Loop: Header=BB16_15 Depth=2
	s_or_b32 exec_lo, exec_lo, s14
	v_add_nc_u64_e32 v[0:1], 8, v[0:1]
	v_add_nc_u64_e32 v[18:19], 32, v[18:19]
	;; [unrolled: 1-line block ×3, first 2 shown]
	s_delay_alu instid0(VALU_DEP_3) | instskip(SKIP_1) | instid1(SALU_CYCLE_1)
	v_cmp_ge_i64_e32 vcc_lo, v[0:1], v[2:3]
	s_or_b32 s13, vcc_lo, s13
	s_and_not1_b32 exec_lo, exec_lo, s13
	s_cbranch_execz .LBB16_19
.LBB16_15:                              ;   Parent Loop BB16_12 Depth=1
                                        ; =>  This Inner Loop Header: Depth=2
	v_add_nc_u64_e32 v[28:29], v[6:7], v[0:1]
	v_mov_b32_e32 v27, 0
	s_delay_alu instid0(VALU_DEP_2)
	v_cmp_lt_i64_e32 vcc_lo, v[28:29], v[2:3]
	v_dual_mov_b32 v29, 0 :: v_dual_mov_b32 v28, 0
	s_and_saveexec_b32 s14, vcc_lo
	s_cbranch_execz .LBB16_17
; %bb.16:                               ;   in Loop: Header=BB16_15 Depth=2
	global_load_b32 v29, v[18:19], off
	v_add_nc_u64_e32 v[30:31], s[8:9], v[20:21]
	s_clause 0x1
	global_load_u8 v27, v[20:21], off
	global_load_u8 v28, v[30:31], off
	s_wait_loadcnt 0x2
	v_subrev_nc_u32_e32 v29, s17, v29
	s_delay_alu instid0(VALU_DEP_1)
	v_lshlrev_b32_e32 v29, 1, v29
.LBB16_17:                              ;   in Loop: Header=BB16_15 Depth=2
	s_wait_xcnt 0x0
	s_or_b32 exec_lo, exec_lo, s14
	ds_store_b32 v23, v29
	s_wait_loadcnt 0x1
	ds_store_b8 v25, v27
	s_wait_loadcnt 0x0
	ds_store_b8 v25, v28 offset:1
	s_wait_dscnt 0x0
	s_barrier_signal -1
	s_barrier_wait -1
	s_and_saveexec_b32 s14, s0
	s_cbranch_execz .LBB16_14
; %bb.18:                               ;   in Loop: Header=BB16_15 Depth=2
	ds_load_b128 v[28:31], v22
	ds_load_b128 v[32:35], v22 offset:16
	s_wait_dscnt 0x1
	v_dual_mov_b32 v36, v28 :: v_dual_ashrrev_i32 v37, 31, v28
	v_dual_mov_b32 v38, v29 :: v_dual_ashrrev_i32 v39, 31, v29
	v_dual_mov_b32 v28, v30 :: v_dual_ashrrev_i32 v29, 31, v30
	s_delay_alu instid0(VALU_DEP_3) | instskip(SKIP_1) | instid1(VALU_DEP_4)
	v_add_nc_u64_e32 v[36:37], v[8:9], v[36:37]
	v_dual_mov_b32 v40, v31 :: v_dual_ashrrev_i32 v41, 31, v31
	v_add_nc_u64_e32 v[38:39], v[8:9], v[38:39]
	s_delay_alu instid0(VALU_DEP_4)
	v_add_nc_u64_e32 v[28:29], v[8:9], v[28:29]
	s_wait_dscnt 0x0
	v_dual_mov_b32 v30, v32 :: v_dual_ashrrev_i32 v31, 31, v32
	v_add_nc_u64_e32 v[40:41], v[8:9], v[40:41]
	s_clause 0x1
	global_load_u16 v27, v[36:37], off
	global_load_u16 v46, v[38:39], off
	v_dual_mov_b32 v42, v33 :: v_dual_ashrrev_i32 v43, 31, v33
	v_dual_mov_b32 v32, v34 :: v_dual_ashrrev_i32 v33, 31, v34
	v_dual_mov_b32 v44, v35 :: v_dual_ashrrev_i32 v45, 31, v35
	v_add_nc_u64_e32 v[30:31], v[8:9], v[30:31]
	s_clause 0x1
	global_load_u16 v36, v[28:29], off
	global_load_u16 v37, v[40:41], off
	v_add_nc_u64_e32 v[34:35], v[8:9], v[42:43]
	s_wait_xcnt 0x1
	v_add_nc_u64_e32 v[28:29], v[8:9], v[32:33]
	v_add_nc_u64_e32 v[32:33], v[8:9], v[44:45]
	s_clause 0x3
	global_load_u16 v38, v[30:31], off
	global_load_u16 v39, v[34:35], off
	;; [unrolled: 1-line block ×4, first 2 shown]
	s_wait_xcnt 0x1
	ds_load_u16 v28, v24
	ds_load_i8 v29, v24 offset:3
	ds_load_i8 v30, v24 offset:4
	ds_load_u16 v31, v24 offset:6
	s_wait_xcnt 0x0
	ds_load_u16 v32, v24 offset:9
	ds_load_u16 v33, v24 offset:12
	;; [unrolled: 1-line block ×4, first 2 shown]
	s_wait_dscnt 0x7
	v_perm_b32 v28, v28, v28, 0xc0c0100
	s_wait_dscnt 0x5
	v_perm_b32 v29, v30, v29, 0x4000c0c
	ds_load_u16 v30, v24 offset:21
	v_or_b32_e32 v28, v29, v28
	s_wait_dscnt 0x4
	v_perm_b32 v29, v32, v31, 0x5040100
	s_wait_loadcnt 0x6
	v_perm_b32 v27, v46, v27, 0x5040100
	s_delay_alu instid0(VALU_DEP_1)
	v_dot4_i32_iu8 v26, v27, v28, v26 neg_lo:[1,1,0]
	s_wait_dscnt 0x2
	v_perm_b32 v27, v34, v33, 0x5040100
	s_wait_loadcnt 0x4
	v_perm_b32 v31, v37, v36, 0x5040100
	s_wait_loadcnt 0x2
	v_perm_b32 v28, v39, v38, 0x5040100
	s_delay_alu instid0(VALU_DEP_2) | instskip(SKIP_2) | instid1(VALU_DEP_2)
	v_dot4_i32_iu8 v26, v31, v29, v26 neg_lo:[1,1,0]
	s_wait_loadcnt 0x0
	v_perm_b32 v29, v41, v40, 0x5040100
	v_dot4_i32_iu8 v26, v28, v27, v26 neg_lo:[1,1,0]
	s_wait_dscnt 0x0
	v_perm_b32 v27, v30, v35, 0x5040100
	s_delay_alu instid0(VALU_DEP_1)
	v_dot4_i32_iu8 v26, v29, v27, v26 neg_lo:[1,1,0]
	s_branch .LBB16_14
.LBB16_19:                              ;   in Loop: Header=BB16_12 Depth=1
	s_or_b32 exec_lo, exec_lo, s13
.LBB16_20:                              ;   in Loop: Header=BB16_12 Depth=1
	s_delay_alu instid0(SALU_CYCLE_1)
	s_or_b32 exec_lo, exec_lo, s12
	s_and_saveexec_b32 s12, s0
	s_cbranch_execz .LBB16_11
; %bb.21:                               ;   in Loop: Header=BB16_12 Depth=1
	v_mul_lo_u32 v0, v26, s18
	s_and_b32 vcc_lo, exec_lo, s1
	s_cbranch_vccz .LBB16_27
; %bb.22:                               ;   in Loop: Header=BB16_12 Depth=1
	s_and_b32 vcc_lo, exec_lo, s10
	s_mov_b32 s13, -1
	s_cbranch_vccz .LBB16_24
; %bb.23:                               ;   in Loop: Header=BB16_12 Depth=1
	global_load_b32 v1, v[12:13], off
	s_mov_b32 s13, 0
	s_wait_loadcnt 0x0
	v_mad_u32 v1, v1, s19, v0
	global_store_b32 v[12:13], v1, off
.LBB16_24:                              ;   in Loop: Header=BB16_12 Depth=1
	s_and_not1_b32 vcc_lo, exec_lo, s13
	s_cbranch_vccnz .LBB16_26
; %bb.25:                               ;   in Loop: Header=BB16_12 Depth=1
	global_load_b32 v1, v[14:15], off
	s_wait_loadcnt 0x0
	v_mad_u32 v1, v1, s19, v0
	global_store_b32 v[14:15], v1, off
.LBB16_26:                              ;   in Loop: Header=BB16_12 Depth=1
	s_cbranch_execnz .LBB16_11
	s_branch .LBB16_28
.LBB16_27:                              ;   in Loop: Header=BB16_12 Depth=1
.LBB16_28:                              ;   in Loop: Header=BB16_12 Depth=1
	s_and_b32 vcc_lo, exec_lo, s10
	s_mov_b32 s13, -1
	s_cbranch_vccz .LBB16_30
; %bb.29:                               ;   in Loop: Header=BB16_12 Depth=1
	s_mov_b32 s13, 0
	global_store_b32 v[12:13], v0, off
.LBB16_30:                              ;   in Loop: Header=BB16_12 Depth=1
	s_and_not1_b32 vcc_lo, exec_lo, s13
	s_cbranch_vccnz .LBB16_11
; %bb.31:                               ;   in Loop: Header=BB16_12 Depth=1
	global_store_b32 v[14:15], v0, off
	s_branch .LBB16_11
.LBB16_32:
	s_endpgm
	.section	.rodata,"a",@progbits
	.p2align	6, 0x0
	.amdhsa_kernel _ZN9rocsparseL29bsrmmnn_small_blockdim_kernelILj64ELj8ELj2EliaaiiEEv20rocsparse_direction_T3_S2_llNS_24const_host_device_scalarIT7_EEPKT2_PKS2_PKT4_PKT5_llS5_PT6_ll16rocsparse_order_21rocsparse_index_base_b
		.amdhsa_group_segment_fixed_size 448
		.amdhsa_private_segment_fixed_size 0
		.amdhsa_kernarg_size 392
		.amdhsa_user_sgpr_count 2
		.amdhsa_user_sgpr_dispatch_ptr 0
		.amdhsa_user_sgpr_queue_ptr 0
		.amdhsa_user_sgpr_kernarg_segment_ptr 1
		.amdhsa_user_sgpr_dispatch_id 0
		.amdhsa_user_sgpr_kernarg_preload_length 0
		.amdhsa_user_sgpr_kernarg_preload_offset 0
		.amdhsa_user_sgpr_private_segment_size 0
		.amdhsa_wavefront_size32 1
		.amdhsa_uses_dynamic_stack 0
		.amdhsa_enable_private_segment 0
		.amdhsa_system_sgpr_workgroup_id_x 1
		.amdhsa_system_sgpr_workgroup_id_y 1
		.amdhsa_system_sgpr_workgroup_id_z 0
		.amdhsa_system_sgpr_workgroup_info 0
		.amdhsa_system_vgpr_workitem_id 0
		.amdhsa_next_free_vgpr 47
		.amdhsa_next_free_sgpr 26
		.amdhsa_named_barrier_count 0
		.amdhsa_reserve_vcc 1
		.amdhsa_float_round_mode_32 0
		.amdhsa_float_round_mode_16_64 0
		.amdhsa_float_denorm_mode_32 3
		.amdhsa_float_denorm_mode_16_64 3
		.amdhsa_fp16_overflow 0
		.amdhsa_memory_ordered 1
		.amdhsa_forward_progress 1
		.amdhsa_inst_pref_size 14
		.amdhsa_round_robin_scheduling 0
		.amdhsa_exception_fp_ieee_invalid_op 0
		.amdhsa_exception_fp_denorm_src 0
		.amdhsa_exception_fp_ieee_div_zero 0
		.amdhsa_exception_fp_ieee_overflow 0
		.amdhsa_exception_fp_ieee_underflow 0
		.amdhsa_exception_fp_ieee_inexact 0
		.amdhsa_exception_int_div_zero 0
	.end_amdhsa_kernel
	.section	.text._ZN9rocsparseL29bsrmmnn_small_blockdim_kernelILj64ELj8ELj2EliaaiiEEv20rocsparse_direction_T3_S2_llNS_24const_host_device_scalarIT7_EEPKT2_PKS2_PKT4_PKT5_llS5_PT6_ll16rocsparse_order_21rocsparse_index_base_b,"axG",@progbits,_ZN9rocsparseL29bsrmmnn_small_blockdim_kernelILj64ELj8ELj2EliaaiiEEv20rocsparse_direction_T3_S2_llNS_24const_host_device_scalarIT7_EEPKT2_PKS2_PKT4_PKT5_llS5_PT6_ll16rocsparse_order_21rocsparse_index_base_b,comdat
.Lfunc_end16:
	.size	_ZN9rocsparseL29bsrmmnn_small_blockdim_kernelILj64ELj8ELj2EliaaiiEEv20rocsparse_direction_T3_S2_llNS_24const_host_device_scalarIT7_EEPKT2_PKS2_PKT4_PKT5_llS5_PT6_ll16rocsparse_order_21rocsparse_index_base_b, .Lfunc_end16-_ZN9rocsparseL29bsrmmnn_small_blockdim_kernelILj64ELj8ELj2EliaaiiEEv20rocsparse_direction_T3_S2_llNS_24const_host_device_scalarIT7_EEPKT2_PKS2_PKT4_PKT5_llS5_PT6_ll16rocsparse_order_21rocsparse_index_base_b
                                        ; -- End function
	.set _ZN9rocsparseL29bsrmmnn_small_blockdim_kernelILj64ELj8ELj2EliaaiiEEv20rocsparse_direction_T3_S2_llNS_24const_host_device_scalarIT7_EEPKT2_PKS2_PKT4_PKT5_llS5_PT6_ll16rocsparse_order_21rocsparse_index_base_b.num_vgpr, 47
	.set _ZN9rocsparseL29bsrmmnn_small_blockdim_kernelILj64ELj8ELj2EliaaiiEEv20rocsparse_direction_T3_S2_llNS_24const_host_device_scalarIT7_EEPKT2_PKS2_PKT4_PKT5_llS5_PT6_ll16rocsparse_order_21rocsparse_index_base_b.num_agpr, 0
	.set _ZN9rocsparseL29bsrmmnn_small_blockdim_kernelILj64ELj8ELj2EliaaiiEEv20rocsparse_direction_T3_S2_llNS_24const_host_device_scalarIT7_EEPKT2_PKS2_PKT4_PKT5_llS5_PT6_ll16rocsparse_order_21rocsparse_index_base_b.numbered_sgpr, 26
	.set _ZN9rocsparseL29bsrmmnn_small_blockdim_kernelILj64ELj8ELj2EliaaiiEEv20rocsparse_direction_T3_S2_llNS_24const_host_device_scalarIT7_EEPKT2_PKS2_PKT4_PKT5_llS5_PT6_ll16rocsparse_order_21rocsparse_index_base_b.num_named_barrier, 0
	.set _ZN9rocsparseL29bsrmmnn_small_blockdim_kernelILj64ELj8ELj2EliaaiiEEv20rocsparse_direction_T3_S2_llNS_24const_host_device_scalarIT7_EEPKT2_PKS2_PKT4_PKT5_llS5_PT6_ll16rocsparse_order_21rocsparse_index_base_b.private_seg_size, 0
	.set _ZN9rocsparseL29bsrmmnn_small_blockdim_kernelILj64ELj8ELj2EliaaiiEEv20rocsparse_direction_T3_S2_llNS_24const_host_device_scalarIT7_EEPKT2_PKS2_PKT4_PKT5_llS5_PT6_ll16rocsparse_order_21rocsparse_index_base_b.uses_vcc, 1
	.set _ZN9rocsparseL29bsrmmnn_small_blockdim_kernelILj64ELj8ELj2EliaaiiEEv20rocsparse_direction_T3_S2_llNS_24const_host_device_scalarIT7_EEPKT2_PKS2_PKT4_PKT5_llS5_PT6_ll16rocsparse_order_21rocsparse_index_base_b.uses_flat_scratch, 0
	.set _ZN9rocsparseL29bsrmmnn_small_blockdim_kernelILj64ELj8ELj2EliaaiiEEv20rocsparse_direction_T3_S2_llNS_24const_host_device_scalarIT7_EEPKT2_PKS2_PKT4_PKT5_llS5_PT6_ll16rocsparse_order_21rocsparse_index_base_b.has_dyn_sized_stack, 0
	.set _ZN9rocsparseL29bsrmmnn_small_blockdim_kernelILj64ELj8ELj2EliaaiiEEv20rocsparse_direction_T3_S2_llNS_24const_host_device_scalarIT7_EEPKT2_PKS2_PKT4_PKT5_llS5_PT6_ll16rocsparse_order_21rocsparse_index_base_b.has_recursion, 0
	.set _ZN9rocsparseL29bsrmmnn_small_blockdim_kernelILj64ELj8ELj2EliaaiiEEv20rocsparse_direction_T3_S2_llNS_24const_host_device_scalarIT7_EEPKT2_PKS2_PKT4_PKT5_llS5_PT6_ll16rocsparse_order_21rocsparse_index_base_b.has_indirect_call, 0
	.section	.AMDGPU.csdata,"",@progbits
; Kernel info:
; codeLenInByte = 1668
; TotalNumSgprs: 28
; NumVgprs: 47
; ScratchSize: 0
; MemoryBound: 0
; FloatMode: 240
; IeeeMode: 1
; LDSByteSize: 448 bytes/workgroup (compile time only)
; SGPRBlocks: 0
; VGPRBlocks: 2
; NumSGPRsForWavesPerEU: 28
; NumVGPRsForWavesPerEU: 47
; NamedBarCnt: 0
; Occupancy: 16
; WaveLimiterHint : 0
; COMPUTE_PGM_RSRC2:SCRATCH_EN: 0
; COMPUTE_PGM_RSRC2:USER_SGPR: 2
; COMPUTE_PGM_RSRC2:TRAP_HANDLER: 0
; COMPUTE_PGM_RSRC2:TGID_X_EN: 1
; COMPUTE_PGM_RSRC2:TGID_Y_EN: 1
; COMPUTE_PGM_RSRC2:TGID_Z_EN: 0
; COMPUTE_PGM_RSRC2:TIDIG_COMP_CNT: 0
	.section	.text._ZN9rocsparseL29bsrmmnn_small_blockdim_kernelILj64ELj8ELj2EllaaiiEEv20rocsparse_direction_T3_S2_llNS_24const_host_device_scalarIT7_EEPKT2_PKS2_PKT4_PKT5_llS5_PT6_ll16rocsparse_order_21rocsparse_index_base_b,"axG",@progbits,_ZN9rocsparseL29bsrmmnn_small_blockdim_kernelILj64ELj8ELj2EllaaiiEEv20rocsparse_direction_T3_S2_llNS_24const_host_device_scalarIT7_EEPKT2_PKS2_PKT4_PKT5_llS5_PT6_ll16rocsparse_order_21rocsparse_index_base_b,comdat
	.globl	_ZN9rocsparseL29bsrmmnn_small_blockdim_kernelILj64ELj8ELj2EllaaiiEEv20rocsparse_direction_T3_S2_llNS_24const_host_device_scalarIT7_EEPKT2_PKS2_PKT4_PKT5_llS5_PT6_ll16rocsparse_order_21rocsparse_index_base_b ; -- Begin function _ZN9rocsparseL29bsrmmnn_small_blockdim_kernelILj64ELj8ELj2EllaaiiEEv20rocsparse_direction_T3_S2_llNS_24const_host_device_scalarIT7_EEPKT2_PKS2_PKT4_PKT5_llS5_PT6_ll16rocsparse_order_21rocsparse_index_base_b
	.p2align	8
	.type	_ZN9rocsparseL29bsrmmnn_small_blockdim_kernelILj64ELj8ELj2EllaaiiEEv20rocsparse_direction_T3_S2_llNS_24const_host_device_scalarIT7_EEPKT2_PKS2_PKT4_PKT5_llS5_PT6_ll16rocsparse_order_21rocsparse_index_base_b,@function
_ZN9rocsparseL29bsrmmnn_small_blockdim_kernelILj64ELj8ELj2EllaaiiEEv20rocsparse_direction_T3_S2_llNS_24const_host_device_scalarIT7_EEPKT2_PKS2_PKT4_PKT5_llS5_PT6_ll16rocsparse_order_21rocsparse_index_base_b: ; @_ZN9rocsparseL29bsrmmnn_small_blockdim_kernelILj64ELj8ELj2EllaaiiEEv20rocsparse_direction_T3_S2_llNS_24const_host_device_scalarIT7_EEPKT2_PKS2_PKT4_PKT5_llS5_PT6_ll16rocsparse_order_21rocsparse_index_base_b
; %bb.0:
	s_clause 0x1
	s_load_b96 s[20:22], s[0:1], 0x80
	s_load_b64 s[4:5], s[0:1], 0x28
	s_mov_b32 s7, -1
	s_wait_kmcnt 0x0
	s_bitcmp1_b32 s22, 0
                                        ; implicit-def: $sgpr22
	s_cselect_b32 s2, -1, 0
	s_delay_alu instid0(SALU_CYCLE_1) | instskip(NEXT) | instid1(SALU_CYCLE_1)
	s_xor_b32 s6, s2, -1
	s_and_b32 vcc_lo, exec_lo, s6
	s_cbranch_vccnz .LBB17_4
; %bb.1:
	s_load_b64 s[2:3], s[0:1], 0x60
	s_and_not1_b32 vcc_lo, exec_lo, s7
	s_cbranch_vccz .LBB17_5
.LBB17_2:
	s_and_b32 vcc_lo, exec_lo, s6
	s_cbranch_vccz .LBB17_6
.LBB17_3:
	s_wait_kmcnt 0x0
	s_load_b32 s23, s[2:3], 0x0
	s_wait_xcnt 0x0
	s_cbranch_execz .LBB17_7
	s_branch .LBB17_8
.LBB17_4:
	s_load_b32 s22, s[4:5], 0x0
	s_load_b64 s[2:3], s[0:1], 0x60
	s_cbranch_execnz .LBB17_2
.LBB17_5:
	s_wait_kmcnt 0x0
	s_mov_b32 s22, s4
	s_and_b32 vcc_lo, exec_lo, s6
	s_cbranch_vccnz .LBB17_3
.LBB17_6:
	s_wait_kmcnt 0x0
                                        ; implicit-def: $sgpr23
.LBB17_7:
	s_wait_kmcnt 0x0
	s_mov_b32 s23, s2
.LBB17_8:
	s_cmp_eq_u32 s22, 0
	s_cselect_b32 s2, -1, 0
	s_wait_kmcnt 0x0
	s_cmp_eq_u32 s23, 1
	s_cselect_b32 s3, -1, 0
	s_delay_alu instid0(SALU_CYCLE_1)
	s_and_b32 s2, s2, s3
	s_mov_b32 s3, 0
	s_and_b32 vcc_lo, exec_lo, s2
	s_cbranch_vccnz .LBB17_32
; %bb.9:
	s_load_b32 s4, s[0:1], 0x90
	s_bfe_u32 s2, ttmp6, 0x4000c
	s_and_b32 s6, ttmp6, 15
	s_add_co_i32 s2, s2, 1
	s_getreg_b32 s5, hwreg(HW_REG_IB_STS2, 6, 4)
	s_mul_i32 s2, ttmp9, s2
	s_delay_alu instid0(SALU_CYCLE_1)
	s_add_co_i32 s6, s6, s2
	s_cmp_eq_u32 s5, 0
	s_cselect_b32 s8, ttmp9, s6
	s_add_nc_u64 s[6:7], s[0:1], 0x90
	s_wait_kmcnt 0x0
	s_cmp_lt_u32 s8, s4
	s_cselect_b32 s2, 12, 18
	s_delay_alu instid0(SALU_CYCLE_1)
	s_add_nc_u64 s[6:7], s[6:7], s[2:3]
	s_mov_b32 s3, exec_lo
	s_load_u16 s2, s[6:7], 0x0
	s_load_b128 s[12:15], s[0:1], 0x8
	s_wait_kmcnt 0x0
	v_mad_u32 v1, s8, s2, v0
	s_delay_alu instid0(VALU_DEP_1) | instskip(NEXT) | instid1(VALU_DEP_1)
	v_dual_mov_b32 v5, 0 :: v_dual_lshrrev_b32 v4, 4, v1
	v_cmpx_gt_i64_e64 s[12:13], v[4:5]
	s_cbranch_execz .LBB17_32
; %bb.10:
	s_load_b128 s[16:19], s[0:1], 0x68
	s_bfe_u32 s3, ttmp6, 0x40010
	s_mul_i32 s4, s4, s2
	s_add_co_i32 s3, s3, 1
	s_bfe_u32 s6, ttmp6, 0x40004
	s_mul_i32 s3, ttmp7, s3
	v_mov_b64_e32 v[6:7], v[4:5]
	v_dual_mov_b32 v3, v5 :: v_dual_bitop2_b32 v4, 7, v1 bitop3:0x40
	s_lshr_b32 s2, s4, 4
	s_add_co_i32 s6, s6, s3
	s_cmp_eq_u32 s5, 0
	v_dual_mov_b32 v9, v5 :: v_dual_lshrrev_b32 v8, 3, v1
	s_cselect_b32 s3, ttmp7, s6
	s_load_b256 s[4:11], s[0:1], 0x30
	v_lshl_or_b32 v2, s3, 3, v4
	s_clause 0x1
	s_load_b32 s26, s[0:1], 0x0
	s_load_b64 s[24:25], s[0:1], 0x50
	v_dual_mov_b32 v13, v5 :: v_dual_lshrrev_b32 v0, 3, v0
	s_wait_kmcnt 0x0
	v_mul_u64_e32 v[14:15], s[18:19], v[8:9]
	v_mul_u64_e32 v[16:17], s[18:19], v[2:3]
	v_bfe_u32 v12, v1, 3, 1
	v_dual_mov_b32 v1, v5 :: v_dual_lshlrev_b32 v24, 6, v0
	v_mul_u32_u24_e32 v18, 24, v0
	v_lshlrev_b32_e32 v0, 2, v8
	s_mov_b32 s3, 0
	v_mul_u32_u24_e32 v20, 3, v4
	s_mov_b32 s18, s21
	v_or_b32_e32 v26, 0x200, v18
	v_add_nc_u64_e32 v[0:1], s[16:17], v[0:1]
	v_lshl_add_u64 v[18:19], v[2:3], 2, s[16:17]
	s_mov_b32 s19, s3
	v_cmp_gt_i64_e64 s0, s[14:15], v[2:3]
	v_sub_nc_u64_e64 v[8:9], v[4:5], s[18:19]
	s_cmp_eq_u32 s26, 0
	v_mad_nc_u64_u32 v[10:11], s24, v2, s[10:11]
	s_cselect_b32 s11, -1, 0
	s_cmp_lg_u32 s23, 0
	v_cndmask_b32_e64 v21, 0, 1, s11
	v_lshl_or_b32 v25, v4, 3, v24
	s_cselect_b32 s1, -1, 0
	s_cmp_lg_u32 s20, 1
	v_add_nc_u32_e32 v27, v26, v20
	v_lshlrev_b64_e32 v[12:13], v21, v[12:13]
	s_cselect_b32 s10, -1, 0
	s_and_b32 s11, s11, exec_lo
	v_mad_u32 v11, s25, v2, v11
	s_mov_b32 s11, s3
	s_delay_alu instid0(VALU_DEP_2)
	v_add_nc_u64_e32 v[12:13], s[8:9], v[12:13]
	v_lshl_add_u64 v[14:15], v[14:15], 2, v[18:19]
	v_lshl_add_u64 v[16:17], v[16:17], 2, v[0:1]
	s_cselect_b32 s8, 1, 2
	s_mov_b32 s9, s3
	s_branch .LBB17_12
.LBB17_11:                              ;   in Loop: Header=BB17_12 Depth=1
	s_wait_xcnt 0x0
	s_or_b32 exec_lo, exec_lo, s14
	v_add_nc_u64_e32 v[6:7], s[2:3], v[6:7]
	s_delay_alu instid0(VALU_DEP_1) | instskip(SKIP_1) | instid1(SALU_CYCLE_1)
	v_cmp_le_i64_e32 vcc_lo, s[12:13], v[6:7]
	s_or_b32 s11, vcc_lo, s11
	s_and_not1_b32 exec_lo, exec_lo, s11
	s_cbranch_execz .LBB17_32
.LBB17_12:                              ; =>This Loop Header: Depth=1
                                        ;     Child Loop BB17_15 Depth 2
	v_lshl_add_u64 v[0:1], v[6:7], 3, s[4:5]
	v_mov_b32_e32 v28, 0
	s_mov_b32 s14, exec_lo
	global_load_b128 v[0:3], v[0:1], off
	s_wait_loadcnt 0x0
	s_wait_xcnt 0x0
	v_cmpx_lt_i64_e64 v[0:1], v[2:3]
	s_cbranch_execz .LBB17_20
; %bb.13:                               ;   in Loop: Header=BB17_12 Depth=1
	v_add_nc_u64_e32 v[20:21], v[8:9], v[0:1]
	v_sub_nc_u64_e64 v[2:3], v[2:3], s[18:19]
	v_sub_nc_u64_e64 v[0:1], v[0:1], s[18:19]
	v_mov_b32_e32 v28, 0
	s_mov_b32 s15, 0
	s_delay_alu instid0(VALU_DEP_4)
	v_lshl_add_u64 v[18:19], v[20:21], 3, s[6:7]
	v_lshl_add_u64 v[20:21], v[20:21], 2, v[12:13]
	s_branch .LBB17_15
.LBB17_14:                              ;   in Loop: Header=BB17_15 Depth=2
	s_or_b32 exec_lo, exec_lo, s16
	v_add_nc_u64_e32 v[0:1], 8, v[0:1]
	v_add_nc_u64_e32 v[18:19], 64, v[18:19]
	;; [unrolled: 1-line block ×3, first 2 shown]
	s_delay_alu instid0(VALU_DEP_3) | instskip(SKIP_1) | instid1(SALU_CYCLE_1)
	v_cmp_ge_i64_e32 vcc_lo, v[0:1], v[2:3]
	s_or_b32 s15, vcc_lo, s15
	s_and_not1_b32 exec_lo, exec_lo, s15
	s_cbranch_execz .LBB17_19
.LBB17_15:                              ;   Parent Loop BB17_12 Depth=1
                                        ; =>  This Inner Loop Header: Depth=2
	s_delay_alu instid0(VALU_DEP_4) | instskip(SKIP_1) | instid1(VALU_DEP_2)
	v_add_nc_u64_e32 v[22:23], v[4:5], v[0:1]
	v_dual_mov_b32 v29, 0 :: v_dual_mov_b32 v30, 0
	v_cmp_lt_i64_e32 vcc_lo, v[22:23], v[2:3]
	v_mov_b64_e32 v[22:23], 0
	s_and_saveexec_b32 s16, vcc_lo
	s_cbranch_execz .LBB17_17
; %bb.16:                               ;   in Loop: Header=BB17_15 Depth=2
	global_load_b64 v[22:23], v[18:19], off
	v_add_nc_u64_e32 v[32:33], s[8:9], v[20:21]
	s_clause 0x1
	global_load_u8 v29, v[20:21], off
	global_load_u8 v30, v[32:33], off
	s_wait_loadcnt 0x2
	v_sub_nc_u64_e64 v[22:23], v[22:23], s[18:19]
	s_delay_alu instid0(VALU_DEP_1)
	v_lshlrev_b64_e32 v[22:23], 1, v[22:23]
.LBB17_17:                              ;   in Loop: Header=BB17_15 Depth=2
	s_wait_xcnt 0x0
	s_or_b32 exec_lo, exec_lo, s16
	ds_store_b64 v25, v[22:23]
	s_wait_loadcnt 0x1
	ds_store_b8 v27, v29
	s_wait_loadcnt 0x0
	ds_store_b8 v27, v30 offset:1
	s_wait_dscnt 0x0
	s_barrier_signal -1
	s_barrier_wait -1
	s_and_saveexec_b32 s16, s0
	s_cbranch_execz .LBB17_14
; %bb.18:                               ;   in Loop: Header=BB17_15 Depth=2
	ds_load_b128 v[30:33], v24
	ds_load_b128 v[34:37], v24 offset:16
	ds_load_b128 v[38:41], v24 offset:32
	;; [unrolled: 1-line block ×3, first 2 shown]
	s_wait_dscnt 0x3
	v_add_nc_u64_e32 v[22:23], v[10:11], v[30:31]
	v_add_nc_u64_e32 v[30:31], v[10:11], v[32:33]
	s_wait_dscnt 0x2
	v_add_nc_u64_e32 v[32:33], v[10:11], v[34:35]
	v_add_nc_u64_e32 v[34:35], v[10:11], v[36:37]
	;; [unrolled: 3-line block ×4, first 2 shown]
	s_clause 0x7
	global_load_u16 v29, v[22:23], off
	global_load_u16 v44, v[30:31], off
	;; [unrolled: 1-line block ×8, first 2 shown]
	s_wait_xcnt 0x7
	ds_load_u16 v22, v26
	ds_load_u16 v23, v26 offset:3
	s_wait_xcnt 0x6
	ds_load_u16 v30, v26 offset:6
	ds_load_u16 v31, v26 offset:9
	s_wait_xcnt 0x5
	ds_load_u16 v32, v26 offset:12
	;; [unrolled: 3-line block ×3, first 2 shown]
	ds_load_u16 v35, v26 offset:21
	s_wait_dscnt 0x6
	v_perm_b32 v23, v23, v22, 0x5040100
	s_wait_dscnt 0x5
	v_perm_b32 v22, v22, v30, 0xc0c0501
	s_wait_dscnt 0x4
	v_perm_b32 v31, v31, v30, 0x5040100
	s_wait_dscnt 0x2
	v_perm_b32 v33, v33, v32, 0x5040100
	s_wait_dscnt 0x1
	v_perm_b32 v30, v34, v32, 0x5010c0c
	s_wait_dscnt 0x0
	v_perm_b32 v35, v35, v34, 0x5040100
	v_bfe_i32 v32, v23, 0, 8
	v_bfe_i32 v34, v31, 0, 8
	s_wait_xcnt 0x3
	v_perm_b32 v36, v23, v31, 0xc0c0703
	v_perm_b32 v23, v23, v31, 0xc0c0602
	;; [unrolled: 1-line block ×4, first 2 shown]
	v_or_b32_e32 v22, v30, v22
	v_bfe_i32 v33, v33, 0, 8
	v_bfe_i32 v35, v35, 0, 8
	v_or_b32_e32 v30, v37, v36
	v_or_b32_e32 v23, v31, v23
	s_wait_loadcnt 0x6
	v_perm_b32 v31, v44, v29, 0x5040100
	s_wait_loadcnt 0x5
	v_perm_b32 v29, v29, v45, 0xc0c0501
	;; [unrolled: 2-line block ×4, first 2 shown]
	s_wait_loadcnt 0x1
	s_wait_xcnt 0x2
	v_perm_b32 v39, v49, v47, 0x5010c0c
	s_wait_loadcnt 0x0
	v_perm_b32 v38, v50, v49, 0x5040100
	s_wait_xcnt 0x1
	v_bfe_i32 v40, v31, 0, 8
	v_bfe_i32 v41, v36, 0, 8
	v_perm_b32 v44, v31, v36, 0xc0c0703
	v_perm_b32 v31, v31, v36, 0xc0c0602
	;; [unrolled: 1-line block ×4, first 2 shown]
	s_wait_xcnt 0x0
	v_bfe_i32 v42, v37, 0, 8
	v_or_b32_e32 v29, v39, v29
	v_bfe_i32 v43, v38, 0, 8
	v_mul_i32_i24_e32 v32, v40, v32
	v_or_b32_e32 v31, v36, v31
	v_or_b32_e32 v36, v45, v44
	v_mul_i32_i24_e32 v34, v41, v34
	v_mul_i32_i24_e32 v33, v42, v33
	v_dot4_i32_iu8 v22, v29, v22, 0 neg_lo:[1,1,0]
	v_mul_i32_i24_e32 v35, v43, v35
	v_dot4_i32_iu8 v30, v36, v30, 0 neg_lo:[1,1,0]
	s_delay_alu instid0(VALU_DEP_4) | instskip(NEXT) | instid1(VALU_DEP_2)
	v_add3_u32 v29, v32, v34, v33
	v_add_nc_u32_e32 v22, v22, v30
	v_dot4_i32_iu8 v23, v31, v23, 0 neg_lo:[1,1,0]
	s_delay_alu instid0(VALU_DEP_1) | instskip(NEXT) | instid1(VALU_DEP_1)
	v_add3_u32 v23, v29, v35, v23
	v_add3_u32 v28, v23, v22, v28
	s_branch .LBB17_14
.LBB17_19:                              ;   in Loop: Header=BB17_12 Depth=1
	s_or_b32 exec_lo, exec_lo, s15
.LBB17_20:                              ;   in Loop: Header=BB17_12 Depth=1
	s_delay_alu instid0(SALU_CYCLE_1)
	s_or_b32 exec_lo, exec_lo, s14
	s_and_saveexec_b32 s14, s0
	s_cbranch_execz .LBB17_11
; %bb.21:                               ;   in Loop: Header=BB17_12 Depth=1
	v_mul_lo_u32 v0, v28, s22
	s_and_b32 vcc_lo, exec_lo, s1
	s_cbranch_vccz .LBB17_27
; %bb.22:                               ;   in Loop: Header=BB17_12 Depth=1
	s_and_b32 vcc_lo, exec_lo, s10
	s_mov_b32 s15, -1
	s_cbranch_vccz .LBB17_24
; %bb.23:                               ;   in Loop: Header=BB17_12 Depth=1
	global_load_b32 v1, v[14:15], off
	s_mov_b32 s15, 0
	s_wait_loadcnt 0x0
	v_mad_u32 v1, v1, s23, v0
	global_store_b32 v[14:15], v1, off
.LBB17_24:                              ;   in Loop: Header=BB17_12 Depth=1
	s_and_not1_b32 vcc_lo, exec_lo, s15
	s_cbranch_vccnz .LBB17_26
; %bb.25:                               ;   in Loop: Header=BB17_12 Depth=1
	global_load_b32 v1, v[16:17], off
	s_wait_loadcnt 0x0
	v_mad_u32 v1, v1, s23, v0
	global_store_b32 v[16:17], v1, off
.LBB17_26:                              ;   in Loop: Header=BB17_12 Depth=1
	s_cbranch_execnz .LBB17_11
	s_branch .LBB17_28
.LBB17_27:                              ;   in Loop: Header=BB17_12 Depth=1
.LBB17_28:                              ;   in Loop: Header=BB17_12 Depth=1
	s_and_b32 vcc_lo, exec_lo, s10
	s_mov_b32 s15, -1
	s_cbranch_vccz .LBB17_30
; %bb.29:                               ;   in Loop: Header=BB17_12 Depth=1
	s_mov_b32 s15, 0
	global_store_b32 v[14:15], v0, off
.LBB17_30:                              ;   in Loop: Header=BB17_12 Depth=1
	s_and_not1_b32 vcc_lo, exec_lo, s15
	s_cbranch_vccnz .LBB17_11
; %bb.31:                               ;   in Loop: Header=BB17_12 Depth=1
	global_store_b32 v[16:17], v0, off
	s_branch .LBB17_11
.LBB17_32:
	s_endpgm
	.section	.rodata,"a",@progbits
	.p2align	6, 0x0
	.amdhsa_kernel _ZN9rocsparseL29bsrmmnn_small_blockdim_kernelILj64ELj8ELj2EllaaiiEEv20rocsparse_direction_T3_S2_llNS_24const_host_device_scalarIT7_EEPKT2_PKS2_PKT4_PKT5_llS5_PT6_ll16rocsparse_order_21rocsparse_index_base_b
		.amdhsa_group_segment_fixed_size 704
		.amdhsa_private_segment_fixed_size 0
		.amdhsa_kernarg_size 400
		.amdhsa_user_sgpr_count 2
		.amdhsa_user_sgpr_dispatch_ptr 0
		.amdhsa_user_sgpr_queue_ptr 0
		.amdhsa_user_sgpr_kernarg_segment_ptr 1
		.amdhsa_user_sgpr_dispatch_id 0
		.amdhsa_user_sgpr_kernarg_preload_length 0
		.amdhsa_user_sgpr_kernarg_preload_offset 0
		.amdhsa_user_sgpr_private_segment_size 0
		.amdhsa_wavefront_size32 1
		.amdhsa_uses_dynamic_stack 0
		.amdhsa_enable_private_segment 0
		.amdhsa_system_sgpr_workgroup_id_x 1
		.amdhsa_system_sgpr_workgroup_id_y 1
		.amdhsa_system_sgpr_workgroup_id_z 0
		.amdhsa_system_sgpr_workgroup_info 0
		.amdhsa_system_vgpr_workitem_id 0
		.amdhsa_next_free_vgpr 51
		.amdhsa_next_free_sgpr 27
		.amdhsa_named_barrier_count 0
		.amdhsa_reserve_vcc 1
		.amdhsa_float_round_mode_32 0
		.amdhsa_float_round_mode_16_64 0
		.amdhsa_float_denorm_mode_32 3
		.amdhsa_float_denorm_mode_16_64 3
		.amdhsa_fp16_overflow 0
		.amdhsa_memory_ordered 1
		.amdhsa_forward_progress 1
		.amdhsa_inst_pref_size 15
		.amdhsa_round_robin_scheduling 0
		.amdhsa_exception_fp_ieee_invalid_op 0
		.amdhsa_exception_fp_denorm_src 0
		.amdhsa_exception_fp_ieee_div_zero 0
		.amdhsa_exception_fp_ieee_overflow 0
		.amdhsa_exception_fp_ieee_underflow 0
		.amdhsa_exception_fp_ieee_inexact 0
		.amdhsa_exception_int_div_zero 0
	.end_amdhsa_kernel
	.section	.text._ZN9rocsparseL29bsrmmnn_small_blockdim_kernelILj64ELj8ELj2EllaaiiEEv20rocsparse_direction_T3_S2_llNS_24const_host_device_scalarIT7_EEPKT2_PKS2_PKT4_PKT5_llS5_PT6_ll16rocsparse_order_21rocsparse_index_base_b,"axG",@progbits,_ZN9rocsparseL29bsrmmnn_small_blockdim_kernelILj64ELj8ELj2EllaaiiEEv20rocsparse_direction_T3_S2_llNS_24const_host_device_scalarIT7_EEPKT2_PKS2_PKT4_PKT5_llS5_PT6_ll16rocsparse_order_21rocsparse_index_base_b,comdat
.Lfunc_end17:
	.size	_ZN9rocsparseL29bsrmmnn_small_blockdim_kernelILj64ELj8ELj2EllaaiiEEv20rocsparse_direction_T3_S2_llNS_24const_host_device_scalarIT7_EEPKT2_PKS2_PKT4_PKT5_llS5_PT6_ll16rocsparse_order_21rocsparse_index_base_b, .Lfunc_end17-_ZN9rocsparseL29bsrmmnn_small_blockdim_kernelILj64ELj8ELj2EllaaiiEEv20rocsparse_direction_T3_S2_llNS_24const_host_device_scalarIT7_EEPKT2_PKS2_PKT4_PKT5_llS5_PT6_ll16rocsparse_order_21rocsparse_index_base_b
                                        ; -- End function
	.set _ZN9rocsparseL29bsrmmnn_small_blockdim_kernelILj64ELj8ELj2EllaaiiEEv20rocsparse_direction_T3_S2_llNS_24const_host_device_scalarIT7_EEPKT2_PKS2_PKT4_PKT5_llS5_PT6_ll16rocsparse_order_21rocsparse_index_base_b.num_vgpr, 51
	.set _ZN9rocsparseL29bsrmmnn_small_blockdim_kernelILj64ELj8ELj2EllaaiiEEv20rocsparse_direction_T3_S2_llNS_24const_host_device_scalarIT7_EEPKT2_PKS2_PKT4_PKT5_llS5_PT6_ll16rocsparse_order_21rocsparse_index_base_b.num_agpr, 0
	.set _ZN9rocsparseL29bsrmmnn_small_blockdim_kernelILj64ELj8ELj2EllaaiiEEv20rocsparse_direction_T3_S2_llNS_24const_host_device_scalarIT7_EEPKT2_PKS2_PKT4_PKT5_llS5_PT6_ll16rocsparse_order_21rocsparse_index_base_b.numbered_sgpr, 27
	.set _ZN9rocsparseL29bsrmmnn_small_blockdim_kernelILj64ELj8ELj2EllaaiiEEv20rocsparse_direction_T3_S2_llNS_24const_host_device_scalarIT7_EEPKT2_PKS2_PKT4_PKT5_llS5_PT6_ll16rocsparse_order_21rocsparse_index_base_b.num_named_barrier, 0
	.set _ZN9rocsparseL29bsrmmnn_small_blockdim_kernelILj64ELj8ELj2EllaaiiEEv20rocsparse_direction_T3_S2_llNS_24const_host_device_scalarIT7_EEPKT2_PKS2_PKT4_PKT5_llS5_PT6_ll16rocsparse_order_21rocsparse_index_base_b.private_seg_size, 0
	.set _ZN9rocsparseL29bsrmmnn_small_blockdim_kernelILj64ELj8ELj2EllaaiiEEv20rocsparse_direction_T3_S2_llNS_24const_host_device_scalarIT7_EEPKT2_PKS2_PKT4_PKT5_llS5_PT6_ll16rocsparse_order_21rocsparse_index_base_b.uses_vcc, 1
	.set _ZN9rocsparseL29bsrmmnn_small_blockdim_kernelILj64ELj8ELj2EllaaiiEEv20rocsparse_direction_T3_S2_llNS_24const_host_device_scalarIT7_EEPKT2_PKS2_PKT4_PKT5_llS5_PT6_ll16rocsparse_order_21rocsparse_index_base_b.uses_flat_scratch, 0
	.set _ZN9rocsparseL29bsrmmnn_small_blockdim_kernelILj64ELj8ELj2EllaaiiEEv20rocsparse_direction_T3_S2_llNS_24const_host_device_scalarIT7_EEPKT2_PKS2_PKT4_PKT5_llS5_PT6_ll16rocsparse_order_21rocsparse_index_base_b.has_dyn_sized_stack, 0
	.set _ZN9rocsparseL29bsrmmnn_small_blockdim_kernelILj64ELj8ELj2EllaaiiEEv20rocsparse_direction_T3_S2_llNS_24const_host_device_scalarIT7_EEPKT2_PKS2_PKT4_PKT5_llS5_PT6_ll16rocsparse_order_21rocsparse_index_base_b.has_recursion, 0
	.set _ZN9rocsparseL29bsrmmnn_small_blockdim_kernelILj64ELj8ELj2EllaaiiEEv20rocsparse_direction_T3_S2_llNS_24const_host_device_scalarIT7_EEPKT2_PKS2_PKT4_PKT5_llS5_PT6_ll16rocsparse_order_21rocsparse_index_base_b.has_indirect_call, 0
	.section	.AMDGPU.csdata,"",@progbits
; Kernel info:
; codeLenInByte = 1888
; TotalNumSgprs: 29
; NumVgprs: 51
; ScratchSize: 0
; MemoryBound: 0
; FloatMode: 240
; IeeeMode: 1
; LDSByteSize: 704 bytes/workgroup (compile time only)
; SGPRBlocks: 0
; VGPRBlocks: 3
; NumSGPRsForWavesPerEU: 29
; NumVGPRsForWavesPerEU: 51
; NamedBarCnt: 0
; Occupancy: 16
; WaveLimiterHint : 1
; COMPUTE_PGM_RSRC2:SCRATCH_EN: 0
; COMPUTE_PGM_RSRC2:USER_SGPR: 2
; COMPUTE_PGM_RSRC2:TRAP_HANDLER: 0
; COMPUTE_PGM_RSRC2:TGID_X_EN: 1
; COMPUTE_PGM_RSRC2:TGID_Y_EN: 1
; COMPUTE_PGM_RSRC2:TGID_Z_EN: 0
; COMPUTE_PGM_RSRC2:TIDIG_COMP_CNT: 0
	.section	.text._ZN9rocsparseL29bsrmmnn_small_blockdim_kernelILj64ELj8ELj2EiiaaffEEv20rocsparse_direction_T3_S2_llNS_24const_host_device_scalarIT7_EEPKT2_PKS2_PKT4_PKT5_llS5_PT6_ll16rocsparse_order_21rocsparse_index_base_b,"axG",@progbits,_ZN9rocsparseL29bsrmmnn_small_blockdim_kernelILj64ELj8ELj2EiiaaffEEv20rocsparse_direction_T3_S2_llNS_24const_host_device_scalarIT7_EEPKT2_PKS2_PKT4_PKT5_llS5_PT6_ll16rocsparse_order_21rocsparse_index_base_b,comdat
	.globl	_ZN9rocsparseL29bsrmmnn_small_blockdim_kernelILj64ELj8ELj2EiiaaffEEv20rocsparse_direction_T3_S2_llNS_24const_host_device_scalarIT7_EEPKT2_PKS2_PKT4_PKT5_llS5_PT6_ll16rocsparse_order_21rocsparse_index_base_b ; -- Begin function _ZN9rocsparseL29bsrmmnn_small_blockdim_kernelILj64ELj8ELj2EiiaaffEEv20rocsparse_direction_T3_S2_llNS_24const_host_device_scalarIT7_EEPKT2_PKS2_PKT4_PKT5_llS5_PT6_ll16rocsparse_order_21rocsparse_index_base_b
	.p2align	8
	.type	_ZN9rocsparseL29bsrmmnn_small_blockdim_kernelILj64ELj8ELj2EiiaaffEEv20rocsparse_direction_T3_S2_llNS_24const_host_device_scalarIT7_EEPKT2_PKS2_PKT4_PKT5_llS5_PT6_ll16rocsparse_order_21rocsparse_index_base_b,@function
_ZN9rocsparseL29bsrmmnn_small_blockdim_kernelILj64ELj8ELj2EiiaaffEEv20rocsparse_direction_T3_S2_llNS_24const_host_device_scalarIT7_EEPKT2_PKS2_PKT4_PKT5_llS5_PT6_ll16rocsparse_order_21rocsparse_index_base_b: ; @_ZN9rocsparseL29bsrmmnn_small_blockdim_kernelILj64ELj8ELj2EiiaaffEEv20rocsparse_direction_T3_S2_llNS_24const_host_device_scalarIT7_EEPKT2_PKS2_PKT4_PKT5_llS5_PT6_ll16rocsparse_order_21rocsparse_index_base_b
; %bb.0:
	s_clause 0x2
	s_load_b96 s[16:18], s[0:1], 0x78
	s_load_b64 s[2:3], s[0:1], 0x20
	s_load_b64 s[24:25], s[0:1], 0x58
	s_wait_kmcnt 0x0
	s_bitcmp1_b32 s18, 0
	s_cselect_b32 s4, -1, 0
	s_delay_alu instid0(SALU_CYCLE_1)
	s_and_b32 vcc_lo, exec_lo, s4
	s_xor_b32 s4, s4, -1
	s_cbranch_vccnz .LBB18_2
; %bb.1:
	s_load_b32 s2, s[2:3], 0x0
.LBB18_2:
	s_and_not1_b32 vcc_lo, exec_lo, s4
	s_cbranch_vccnz .LBB18_4
; %bb.3:
	s_load_b32 s24, s[24:25], 0x0
.LBB18_4:
	s_wait_kmcnt 0x0
	s_cmp_eq_f32 s2, 0
	s_mov_b32 s5, 0
	s_cselect_b32 s3, -1, 0
	s_cmp_eq_f32 s24, 1.0
	s_cselect_b32 s4, -1, 0
	s_delay_alu instid0(SALU_CYCLE_1) | instskip(NEXT) | instid1(SALU_CYCLE_1)
	s_and_b32 s3, s3, s4
	s_and_b32 vcc_lo, exec_lo, s3
	s_cbranch_vccnz .LBB18_28
; %bb.5:
	s_load_b32 s3, s[0:1], 0x88
	s_bfe_u32 s4, ttmp6, 0x4000c
	s_and_b32 s7, ttmp6, 15
	s_add_co_i32 s4, s4, 1
	s_getreg_b32 s6, hwreg(HW_REG_IB_STS2, 6, 4)
	s_mul_i32 s4, ttmp9, s4
	s_add_nc_u64 s[8:9], s[0:1], 0x88
	s_add_co_i32 s7, s7, s4
	s_cmp_eq_u32 s6, 0
	s_cselect_b32 s7, ttmp9, s7
	s_wait_kmcnt 0x0
	s_cmp_lt_u32 s7, s3
	s_cselect_b32 s4, 12, 18
	s_delay_alu instid0(SALU_CYCLE_1)
	s_add_nc_u64 s[8:9], s[8:9], s[4:5]
	s_mov_b32 s5, exec_lo
	s_load_u16 s4, s[8:9], 0x0
	s_load_b96 s[20:22], s[0:1], 0x0
	s_wait_kmcnt 0x0
	v_mad_u32 v1, s7, s4, v0
	s_delay_alu instid0(VALU_DEP_1) | instskip(NEXT) | instid1(VALU_DEP_1)
	v_lshrrev_b32_e32 v2, 4, v1
	v_cmpx_gt_i32_e64 s21, v2
	s_cbranch_execz .LBB18_28
; %bb.6:
	s_bfe_u32 s5, ttmp6, 0x40010
	s_load_b128 s[12:15], s[0:1], 0x60
	s_add_co_i32 s5, s5, 1
	s_mul_i32 s3, s3, s4
	s_mul_i32 s4, ttmp7, s5
	s_bfe_u32 s5, ttmp6, 0x40004
	v_dual_mov_b32 v3, 0 :: v_dual_bitop2_b32 v10, 7, v1 bitop3:0x40
	s_lshr_b32 s3, s3, 4
	s_add_co_i32 s5, s5, s4
	s_cmp_eq_u32 s6, 0
	s_delay_alu instid0(VALU_DEP_1)
	v_dual_mov_b32 v9, v3 :: v_dual_lshrrev_b32 v0, 3, v0
	s_cselect_b32 s18, ttmp7, s5
	s_load_b256 s[4:11], s[0:1], 0x28
	v_lshl_or_b32 v6, s18, 3, v10
	s_wait_xcnt 0x0
	s_load_b64 s[0:1], s[0:1], 0x48
	v_lshrrev_b32_e32 v8, 3, v1
	v_bfe_u32 v1, v1, 3, 1
	s_cmp_eq_u32 s20, 0
	v_dual_ashrrev_i32 v7, 31, v6 :: v_dual_lshlrev_b32 v11, 5, v0
	s_wait_kmcnt 0x0
	v_mul_u64_e32 v[18:19], s[14:15], v[8:9]
	v_or_b32_e32 v15, 2, v1
	v_mul_u32_u24_e32 v0, 24, v0
	v_mul_u64_e32 v[16:17], s[14:15], v[6:7]
	v_dual_lshlrev_b32 v14, 1, v1 :: v_dual_lshlrev_b32 v8, 2, v8
	s_cselect_b32 vcc_lo, -1, 0
	v_mul_u32_u24_e32 v20, 3, v10
	v_or_b32_e32 v13, 0x100, v0
	s_delay_alu instid0(VALU_DEP_3)
	v_dual_cndmask_b32 v14, v1, v14, vcc_lo :: v_dual_bitop2_b32 v21, 1, v14 bitop3:0x54
	v_lshl_add_u64 v[0:1], v[6:7], 2, s[12:13]
	s_cmp_neq_f32 s24, 0
	v_lshl_or_b32 v12, v10, 2, v11
	v_mad_nc_u64_u32 v[4:5], s0, v6, s[10:11]
	v_cndmask_b32_e32 v15, v15, v21, vcc_lo
	s_mov_b32 s10, 0
	s_delay_alu instid0(VALU_DEP_2)
	v_mad_u32 v5, s1, v6, v5
	s_cselect_b32 s1, -1, 0
	s_cmp_lg_u32 s16, 1
	s_cselect_b32 s11, -1, 0
	v_lshl_add_u64 v[0:1], v[18:19], 2, v[0:1]
	v_lshl_add_u64 v[16:17], v[16:17], 2, s[12:13]
	s_delay_alu instid0(VALU_DEP_3) | instskip(SKIP_1) | instid1(VALU_DEP_3)
	v_mad_u32 v5, s0, v7, v5
	v_cmp_gt_i32_e64 s0, s22, v6
	v_add_nc_u64_e32 v[6:7], v[16:17], v[8:9]
	v_subrev_nc_u32_e32 v16, s17, v10
	v_add_nc_u32_e32 v17, v13, v20
	s_branch .LBB18_8
.LBB18_7:                               ;   in Loop: Header=BB18_8 Depth=1
	s_wait_xcnt 0x0
	s_or_b32 exec_lo, exec_lo, s12
	v_add_nc_u32_e32 v2, s3, v2
	s_delay_alu instid0(VALU_DEP_1) | instskip(SKIP_1) | instid1(SALU_CYCLE_1)
	v_cmp_le_i32_e32 vcc_lo, s21, v2
	s_or_b32 s10, vcc_lo, s10
	s_and_not1_b32 exec_lo, exec_lo, s10
	s_cbranch_execz .LBB18_28
.LBB18_8:                               ; =>This Loop Header: Depth=1
                                        ;     Child Loop BB18_11 Depth 2
	v_lshl_add_u64 v[8:9], v[2:3], 2, s[4:5]
	v_mov_b32_e32 v18, 0
	s_mov_b32 s12, exec_lo
	global_load_b64 v[8:9], v[8:9], off
	s_wait_loadcnt 0x0
	s_wait_xcnt 0x0
	v_cmpx_lt_i32_e64 v8, v9
	s_cbranch_execz .LBB18_16
; %bb.9:                                ;   in Loop: Header=BB18_8 Depth=1
	v_add_lshl_u32 v18, v16, v8, 2
	v_subrev_nc_u32_e32 v9, s17, v9
	v_subrev_nc_u32_e32 v8, s17, v8
	s_mov_b32 s13, 0
	s_delay_alu instid0(VALU_DEP_3)
	v_or_b32_e32 v19, v15, v18
	v_dual_mov_b32 v18, 0 :: v_dual_bitop2_b32 v20, v14, v18 bitop3:0x54
	s_branch .LBB18_11
.LBB18_10:                              ;   in Loop: Header=BB18_11 Depth=2
	s_or_b32 exec_lo, exec_lo, s14
	v_dual_add_nc_u32 v8, 8, v8 :: v_dual_add_nc_u32 v19, 32, v19
	v_add_nc_u32_e32 v20, 32, v20
	s_delay_alu instid0(VALU_DEP_2) | instskip(SKIP_1) | instid1(SALU_CYCLE_1)
	v_cmp_ge_i32_e32 vcc_lo, v8, v9
	s_or_b32 s13, vcc_lo, s13
	s_and_not1_b32 exec_lo, exec_lo, s13
	s_cbranch_execz .LBB18_15
.LBB18_11:                              ;   Parent Loop BB18_8 Depth=1
                                        ; =>  This Inner Loop Header: Depth=2
	v_dual_mov_b32 v23, 0 :: v_dual_add_nc_u32 v24, v10, v8
	v_dual_mov_b32 v21, 0 :: v_dual_mov_b32 v22, 0
	s_mov_b32 s14, exec_lo
	s_delay_alu instid0(VALU_DEP_2)
	v_cmpx_lt_i32_e64 v24, v9
	s_cbranch_execz .LBB18_13
; %bb.12:                               ;   in Loop: Header=BB18_11 Depth=2
	global_load_b32 v23, v24, s[6:7] scale_offset
	s_clause 0x1
	global_load_u8 v21, v20, s[8:9]
	global_load_u8 v22, v19, s[8:9]
	s_wait_loadcnt 0x2
	v_subrev_nc_u32_e32 v23, s17, v23
	s_delay_alu instid0(VALU_DEP_1)
	v_lshlrev_b32_e32 v23, 1, v23
.LBB18_13:                              ;   in Loop: Header=BB18_11 Depth=2
	s_wait_xcnt 0x0
	s_or_b32 exec_lo, exec_lo, s14
	ds_store_b32 v12, v23
	s_wait_loadcnt 0x1
	ds_store_b8 v17, v21
	s_wait_loadcnt 0x0
	ds_store_b8 v17, v22 offset:1
	s_wait_dscnt 0x0
	s_barrier_signal -1
	s_barrier_wait -1
	s_and_saveexec_b32 s14, s0
	s_cbranch_execz .LBB18_10
; %bb.14:                               ;   in Loop: Header=BB18_11 Depth=2
	ds_load_b128 v[22:25], v11
	ds_load_b128 v[26:29], v11 offset:16
	s_wait_dscnt 0x1
	v_dual_mov_b32 v30, v22 :: v_dual_ashrrev_i32 v31, 31, v22
	v_dual_mov_b32 v32, v23 :: v_dual_ashrrev_i32 v33, 31, v23
	s_delay_alu instid0(VALU_DEP_2) | instskip(NEXT) | instid1(VALU_DEP_2)
	v_add_nc_u64_e32 v[30:31], v[4:5], v[30:31]
	v_add_nc_u64_e32 v[22:23], v[4:5], v[32:33]
	s_clause 0x1
	global_load_u16 v21, v[30:31], off
	global_load_u16 v32, v[22:23], off
	s_wait_xcnt 0x1
	v_dual_mov_b32 v30, v24 :: v_dual_ashrrev_i32 v31, 31, v24
	s_wait_dscnt 0x0
	v_mov_b32_e32 v24, v26
	s_wait_xcnt 0x0
	s_delay_alu instid0(VALU_DEP_2)
	v_add_nc_u64_e32 v[22:23], v[4:5], v[30:31]
	v_dual_mov_b32 v30, v25 :: v_dual_ashrrev_i32 v31, 31, v25
	v_ashrrev_i32_e32 v25, 31, v26
	global_load_u16 v33, v[22:23], off
	s_wait_xcnt 0x0
	v_add_nc_u64_e32 v[22:23], v[4:5], v[30:31]
	global_load_u16 v26, v[22:23], off
	s_wait_xcnt 0x0
	v_add_nc_u64_e32 v[22:23], v[4:5], v[24:25]
	v_dual_mov_b32 v24, v27 :: v_dual_ashrrev_i32 v25, 31, v27
	global_load_u16 v27, v[22:23], off
	s_wait_xcnt 0x0
	v_add_nc_u64_e32 v[22:23], v[4:5], v[24:25]
	v_dual_mov_b32 v24, v28 :: v_dual_ashrrev_i32 v25, 31, v28
	;; [unrolled: 4-line block ×3, first 2 shown]
	global_load_u16 v29, v[22:23], off
	s_wait_xcnt 0x0
	v_add_nc_u64_e32 v[22:23], v[4:5], v[24:25]
	global_load_u16 v22, v[22:23], off
	s_wait_xcnt 0x0
	ds_load_u16 v23, v13
	ds_load_i8 v24, v13 offset:3
	ds_load_i8 v25, v13 offset:4
	ds_load_u16 v30, v13 offset:6
	ds_load_i8 v31, v13 offset:9
	ds_load_i8 v34, v13 offset:10
	ds_load_u16 v35, v13 offset:12
	;; [unrolled: 3-line block ×3, first 2 shown]
	ds_load_i8 v39, v13 offset:21
	ds_load_i8 v40, v13 offset:22
	s_wait_dscnt 0xb
	v_bfe_i32 v41, v23, 0, 8
	v_ashrrev_i16 v23, 8, v23
	s_wait_dscnt 0xa
	v_cvt_f32_i32_e32 v24, v24
	s_wait_dscnt 0x8
	v_bfe_i32 v42, v30, 0, 8
	v_ashrrev_i16 v30, 8, v30
	v_bfe_i32 v41, v41, 0, 16
	v_bfe_i32 v23, v23, 0, 16
	v_cvt_f32_i32_e32 v25, v25
	s_wait_dscnt 0x7
	v_cvt_f32_i32_e32 v31, v31
	s_wait_dscnt 0x5
	v_bfe_i32 v43, v35, 0, 8
	v_cvt_f32_i32_e32 v41, v41
	v_cvt_f32_i32_e32 v23, v23
	;; [unrolled: 1-line block ×3, first 2 shown]
	v_ashrrev_i16 v35, 8, v35
	s_wait_dscnt 0x4
	v_cvt_f32_i32_e32 v36, v36
	s_wait_dscnt 0x2
	v_bfe_i32 v45, v38, 0, 8
	v_cvt_f32_i32_e32 v37, v37
	v_ashrrev_i16 v38, 8, v38
	s_wait_loadcnt 0x7
	v_bfe_i32 v44, v21, 0, 8
	v_ashrrev_i16 v21, 8, v21
	s_wait_loadcnt 0x6
	v_bfe_i32 v46, v32, 0, 8
	v_ashrrev_i16 v32, 8, v32
	v_bfe_i32 v44, v44, 0, 16
	v_bfe_i32 v21, v21, 0, 16
	s_delay_alu instid0(VALU_DEP_4) | instskip(NEXT) | instid1(VALU_DEP_4)
	v_bfe_i32 v46, v46, 0, 16
	v_bfe_i32 v32, v32, 0, 16
	s_delay_alu instid0(VALU_DEP_4) | instskip(NEXT) | instid1(VALU_DEP_4)
	v_cvt_f32_i32_e32 v44, v44
	v_cvt_f32_i32_e32 v21, v21
	s_delay_alu instid0(VALU_DEP_3) | instskip(NEXT) | instid1(VALU_DEP_3)
	v_cvt_f32_i32_e32 v32, v32
	v_fmac_f32_e32 v18, v41, v44
	v_bfe_i32 v41, v42, 0, 16
	s_wait_loadcnt 0x5
	v_bfe_i32 v42, v33, 0, 8
	v_cvt_f32_i32_e32 v44, v46
	v_fmac_f32_e32 v18, v23, v21
	v_bfe_i32 v21, v30, 0, 16
	v_ashrrev_i16 v23, 8, v33
	v_bfe_i32 v30, v42, 0, 16
	s_wait_loadcnt 0x4
	v_bfe_i32 v33, v26, 0, 8
	v_fmac_f32_e32 v18, v24, v44
	v_cvt_f32_i32_e32 v24, v41
	v_bfe_i32 v23, v23, 0, 16
	v_cvt_f32_i32_e32 v30, v30
	v_cvt_f32_i32_e32 v21, v21
	v_fmac_f32_e32 v18, v25, v32
	v_ashrrev_i16 v25, 8, v26
	v_bfe_i32 v26, v33, 0, 16
	v_cvt_f32_i32_e32 v23, v23
	s_delay_alu instid0(VALU_DEP_4)
	v_fmac_f32_e32 v18, v24, v30
	s_wait_loadcnt 0x3
	v_bfe_i32 v30, v27, 0, 8
	v_bfe_i32 v25, v25, 0, 16
	v_cvt_f32_i32_e32 v26, v26
	v_bfe_i32 v24, v43, 0, 16
	v_fmac_f32_e32 v18, v21, v23
	v_ashrrev_i16 v23, 8, v27
	v_bfe_i32 v27, v30, 0, 16
	v_cvt_f32_i32_e32 v25, v25
	v_bfe_i32 v21, v35, 0, 16
	v_fmac_f32_e32 v18, v31, v26
	v_cvt_f32_i32_e32 v24, v24
	s_wait_loadcnt 0x2
	v_bfe_i32 v26, v28, 0, 8
	v_bfe_i32 v23, v23, 0, 16
	v_cvt_f32_i32_e32 v27, v27
	v_fmac_f32_e32 v18, v34, v25
	v_cvt_f32_i32_e32 v21, v21
	v_ashrrev_i16 v25, 8, v28
	v_bfe_i32 v26, v26, 0, 16
	v_cvt_f32_i32_e32 v23, v23
	v_fmac_f32_e32 v18, v24, v27
	s_wait_loadcnt 0x1
	v_bfe_i32 v27, v29, 0, 8
	v_bfe_i32 v25, v25, 0, 16
	v_cvt_f32_i32_e32 v26, v26
	v_bfe_i32 v24, v45, 0, 16
	v_fmac_f32_e32 v18, v21, v23
	v_ashrrev_i16 v23, 8, v29
	v_bfe_i32 v27, v27, 0, 16
	v_cvt_f32_i32_e32 v25, v25
	v_bfe_i32 v21, v38, 0, 16
	v_fmac_f32_e32 v18, v36, v26
	v_cvt_f32_i32_e32 v24, v24
	s_wait_loadcnt 0x0
	v_bfe_i32 v26, v22, 0, 8
	v_bfe_i32 v23, v23, 0, 16
	v_cvt_f32_i32_e32 v27, v27
	v_fmac_f32_e32 v18, v37, v25
	v_cvt_f32_i32_e32 v21, v21
	v_bfe_i32 v25, v26, 0, 16
	v_cvt_f32_i32_e32 v23, v23
	v_ashrrev_i16 v22, 8, v22
	v_fmac_f32_e32 v18, v24, v27
	s_wait_dscnt 0x1
	v_cvt_f32_i32_e32 v24, v39
	v_cvt_f32_i32_e32 v25, v25
	s_delay_alu instid0(VALU_DEP_3) | instskip(SKIP_3) | instid1(VALU_DEP_3)
	v_fmac_f32_e32 v18, v21, v23
	v_bfe_i32 v21, v22, 0, 16
	s_wait_dscnt 0x0
	v_cvt_f32_i32_e32 v22, v40
	v_fmac_f32_e32 v18, v24, v25
	s_delay_alu instid0(VALU_DEP_3) | instskip(NEXT) | instid1(VALU_DEP_1)
	v_cvt_f32_i32_e32 v21, v21
	v_fmac_f32_e32 v18, v22, v21
	s_branch .LBB18_10
.LBB18_15:                              ;   in Loop: Header=BB18_8 Depth=1
	s_or_b32 exec_lo, exec_lo, s13
.LBB18_16:                              ;   in Loop: Header=BB18_8 Depth=1
	s_delay_alu instid0(SALU_CYCLE_1)
	s_or_b32 exec_lo, exec_lo, s12
	s_and_saveexec_b32 s12, s0
	s_cbranch_execz .LBB18_7
; %bb.17:                               ;   in Loop: Header=BB18_8 Depth=1
	v_mul_f32_e32 v8, s2, v18
	s_and_b32 vcc_lo, exec_lo, s1
	s_cbranch_vccz .LBB18_23
; %bb.18:                               ;   in Loop: Header=BB18_8 Depth=1
	s_and_b32 vcc_lo, exec_lo, s11
	s_mov_b32 s13, -1
	s_cbranch_vccz .LBB18_20
; %bb.19:                               ;   in Loop: Header=BB18_8 Depth=1
	global_load_b32 v9, v[0:1], off
	s_mov_b32 s13, 0
	s_wait_loadcnt 0x0
	v_fma_f32 v9, s24, v9, v8
	global_store_b32 v[0:1], v9, off
.LBB18_20:                              ;   in Loop: Header=BB18_8 Depth=1
	s_and_not1_b32 vcc_lo, exec_lo, s13
	s_cbranch_vccnz .LBB18_22
; %bb.21:                               ;   in Loop: Header=BB18_8 Depth=1
	global_load_b32 v9, v[6:7], off
	s_wait_loadcnt 0x0
	v_fma_f32 v9, s24, v9, v8
	global_store_b32 v[6:7], v9, off
.LBB18_22:                              ;   in Loop: Header=BB18_8 Depth=1
	s_cbranch_execnz .LBB18_7
	s_branch .LBB18_24
.LBB18_23:                              ;   in Loop: Header=BB18_8 Depth=1
.LBB18_24:                              ;   in Loop: Header=BB18_8 Depth=1
	s_and_b32 vcc_lo, exec_lo, s11
	s_mov_b32 s13, -1
	s_cbranch_vccz .LBB18_26
; %bb.25:                               ;   in Loop: Header=BB18_8 Depth=1
	s_mov_b32 s13, 0
	global_store_b32 v[0:1], v8, off
.LBB18_26:                              ;   in Loop: Header=BB18_8 Depth=1
	s_and_not1_b32 vcc_lo, exec_lo, s13
	s_cbranch_vccnz .LBB18_7
; %bb.27:                               ;   in Loop: Header=BB18_8 Depth=1
	global_store_b32 v[6:7], v8, off
	s_branch .LBB18_7
.LBB18_28:
	s_endpgm
	.section	.rodata,"a",@progbits
	.p2align	6, 0x0
	.amdhsa_kernel _ZN9rocsparseL29bsrmmnn_small_blockdim_kernelILj64ELj8ELj2EiiaaffEEv20rocsparse_direction_T3_S2_llNS_24const_host_device_scalarIT7_EEPKT2_PKS2_PKT4_PKT5_llS5_PT6_ll16rocsparse_order_21rocsparse_index_base_b
		.amdhsa_group_segment_fixed_size 448
		.amdhsa_private_segment_fixed_size 0
		.amdhsa_kernarg_size 392
		.amdhsa_user_sgpr_count 2
		.amdhsa_user_sgpr_dispatch_ptr 0
		.amdhsa_user_sgpr_queue_ptr 0
		.amdhsa_user_sgpr_kernarg_segment_ptr 1
		.amdhsa_user_sgpr_dispatch_id 0
		.amdhsa_user_sgpr_kernarg_preload_length 0
		.amdhsa_user_sgpr_kernarg_preload_offset 0
		.amdhsa_user_sgpr_private_segment_size 0
		.amdhsa_wavefront_size32 1
		.amdhsa_uses_dynamic_stack 0
		.amdhsa_enable_private_segment 0
		.amdhsa_system_sgpr_workgroup_id_x 1
		.amdhsa_system_sgpr_workgroup_id_y 1
		.amdhsa_system_sgpr_workgroup_id_z 0
		.amdhsa_system_sgpr_workgroup_info 0
		.amdhsa_system_vgpr_workitem_id 0
		.amdhsa_next_free_vgpr 47
		.amdhsa_next_free_sgpr 26
		.amdhsa_named_barrier_count 0
		.amdhsa_reserve_vcc 1
		.amdhsa_float_round_mode_32 0
		.amdhsa_float_round_mode_16_64 0
		.amdhsa_float_denorm_mode_32 3
		.amdhsa_float_denorm_mode_16_64 3
		.amdhsa_fp16_overflow 0
		.amdhsa_memory_ordered 1
		.amdhsa_forward_progress 1
		.amdhsa_inst_pref_size 17
		.amdhsa_round_robin_scheduling 0
		.amdhsa_exception_fp_ieee_invalid_op 0
		.amdhsa_exception_fp_denorm_src 0
		.amdhsa_exception_fp_ieee_div_zero 0
		.amdhsa_exception_fp_ieee_overflow 0
		.amdhsa_exception_fp_ieee_underflow 0
		.amdhsa_exception_fp_ieee_inexact 0
		.amdhsa_exception_int_div_zero 0
	.end_amdhsa_kernel
	.section	.text._ZN9rocsparseL29bsrmmnn_small_blockdim_kernelILj64ELj8ELj2EiiaaffEEv20rocsparse_direction_T3_S2_llNS_24const_host_device_scalarIT7_EEPKT2_PKS2_PKT4_PKT5_llS5_PT6_ll16rocsparse_order_21rocsparse_index_base_b,"axG",@progbits,_ZN9rocsparseL29bsrmmnn_small_blockdim_kernelILj64ELj8ELj2EiiaaffEEv20rocsparse_direction_T3_S2_llNS_24const_host_device_scalarIT7_EEPKT2_PKS2_PKT4_PKT5_llS5_PT6_ll16rocsparse_order_21rocsparse_index_base_b,comdat
.Lfunc_end18:
	.size	_ZN9rocsparseL29bsrmmnn_small_blockdim_kernelILj64ELj8ELj2EiiaaffEEv20rocsparse_direction_T3_S2_llNS_24const_host_device_scalarIT7_EEPKT2_PKS2_PKT4_PKT5_llS5_PT6_ll16rocsparse_order_21rocsparse_index_base_b, .Lfunc_end18-_ZN9rocsparseL29bsrmmnn_small_blockdim_kernelILj64ELj8ELj2EiiaaffEEv20rocsparse_direction_T3_S2_llNS_24const_host_device_scalarIT7_EEPKT2_PKS2_PKT4_PKT5_llS5_PT6_ll16rocsparse_order_21rocsparse_index_base_b
                                        ; -- End function
	.set _ZN9rocsparseL29bsrmmnn_small_blockdim_kernelILj64ELj8ELj2EiiaaffEEv20rocsparse_direction_T3_S2_llNS_24const_host_device_scalarIT7_EEPKT2_PKS2_PKT4_PKT5_llS5_PT6_ll16rocsparse_order_21rocsparse_index_base_b.num_vgpr, 47
	.set _ZN9rocsparseL29bsrmmnn_small_blockdim_kernelILj64ELj8ELj2EiiaaffEEv20rocsparse_direction_T3_S2_llNS_24const_host_device_scalarIT7_EEPKT2_PKS2_PKT4_PKT5_llS5_PT6_ll16rocsparse_order_21rocsparse_index_base_b.num_agpr, 0
	.set _ZN9rocsparseL29bsrmmnn_small_blockdim_kernelILj64ELj8ELj2EiiaaffEEv20rocsparse_direction_T3_S2_llNS_24const_host_device_scalarIT7_EEPKT2_PKS2_PKT4_PKT5_llS5_PT6_ll16rocsparse_order_21rocsparse_index_base_b.numbered_sgpr, 26
	.set _ZN9rocsparseL29bsrmmnn_small_blockdim_kernelILj64ELj8ELj2EiiaaffEEv20rocsparse_direction_T3_S2_llNS_24const_host_device_scalarIT7_EEPKT2_PKS2_PKT4_PKT5_llS5_PT6_ll16rocsparse_order_21rocsparse_index_base_b.num_named_barrier, 0
	.set _ZN9rocsparseL29bsrmmnn_small_blockdim_kernelILj64ELj8ELj2EiiaaffEEv20rocsparse_direction_T3_S2_llNS_24const_host_device_scalarIT7_EEPKT2_PKS2_PKT4_PKT5_llS5_PT6_ll16rocsparse_order_21rocsparse_index_base_b.private_seg_size, 0
	.set _ZN9rocsparseL29bsrmmnn_small_blockdim_kernelILj64ELj8ELj2EiiaaffEEv20rocsparse_direction_T3_S2_llNS_24const_host_device_scalarIT7_EEPKT2_PKS2_PKT4_PKT5_llS5_PT6_ll16rocsparse_order_21rocsparse_index_base_b.uses_vcc, 1
	.set _ZN9rocsparseL29bsrmmnn_small_blockdim_kernelILj64ELj8ELj2EiiaaffEEv20rocsparse_direction_T3_S2_llNS_24const_host_device_scalarIT7_EEPKT2_PKS2_PKT4_PKT5_llS5_PT6_ll16rocsparse_order_21rocsparse_index_base_b.uses_flat_scratch, 0
	.set _ZN9rocsparseL29bsrmmnn_small_blockdim_kernelILj64ELj8ELj2EiiaaffEEv20rocsparse_direction_T3_S2_llNS_24const_host_device_scalarIT7_EEPKT2_PKS2_PKT4_PKT5_llS5_PT6_ll16rocsparse_order_21rocsparse_index_base_b.has_dyn_sized_stack, 0
	.set _ZN9rocsparseL29bsrmmnn_small_blockdim_kernelILj64ELj8ELj2EiiaaffEEv20rocsparse_direction_T3_S2_llNS_24const_host_device_scalarIT7_EEPKT2_PKS2_PKT4_PKT5_llS5_PT6_ll16rocsparse_order_21rocsparse_index_base_b.has_recursion, 0
	.set _ZN9rocsparseL29bsrmmnn_small_blockdim_kernelILj64ELj8ELj2EiiaaffEEv20rocsparse_direction_T3_S2_llNS_24const_host_device_scalarIT7_EEPKT2_PKS2_PKT4_PKT5_llS5_PT6_ll16rocsparse_order_21rocsparse_index_base_b.has_indirect_call, 0
	.section	.AMDGPU.csdata,"",@progbits
; Kernel info:
; codeLenInByte = 2088
; TotalNumSgprs: 28
; NumVgprs: 47
; ScratchSize: 0
; MemoryBound: 0
; FloatMode: 240
; IeeeMode: 1
; LDSByteSize: 448 bytes/workgroup (compile time only)
; SGPRBlocks: 0
; VGPRBlocks: 2
; NumSGPRsForWavesPerEU: 28
; NumVGPRsForWavesPerEU: 47
; NamedBarCnt: 0
; Occupancy: 16
; WaveLimiterHint : 0
; COMPUTE_PGM_RSRC2:SCRATCH_EN: 0
; COMPUTE_PGM_RSRC2:USER_SGPR: 2
; COMPUTE_PGM_RSRC2:TRAP_HANDLER: 0
; COMPUTE_PGM_RSRC2:TGID_X_EN: 1
; COMPUTE_PGM_RSRC2:TGID_Y_EN: 1
; COMPUTE_PGM_RSRC2:TGID_Z_EN: 0
; COMPUTE_PGM_RSRC2:TIDIG_COMP_CNT: 0
	.section	.text._ZN9rocsparseL29bsrmmnn_small_blockdim_kernelILj64ELj8ELj2EliaaffEEv20rocsparse_direction_T3_S2_llNS_24const_host_device_scalarIT7_EEPKT2_PKS2_PKT4_PKT5_llS5_PT6_ll16rocsparse_order_21rocsparse_index_base_b,"axG",@progbits,_ZN9rocsparseL29bsrmmnn_small_blockdim_kernelILj64ELj8ELj2EliaaffEEv20rocsparse_direction_T3_S2_llNS_24const_host_device_scalarIT7_EEPKT2_PKS2_PKT4_PKT5_llS5_PT6_ll16rocsparse_order_21rocsparse_index_base_b,comdat
	.globl	_ZN9rocsparseL29bsrmmnn_small_blockdim_kernelILj64ELj8ELj2EliaaffEEv20rocsparse_direction_T3_S2_llNS_24const_host_device_scalarIT7_EEPKT2_PKS2_PKT4_PKT5_llS5_PT6_ll16rocsparse_order_21rocsparse_index_base_b ; -- Begin function _ZN9rocsparseL29bsrmmnn_small_blockdim_kernelILj64ELj8ELj2EliaaffEEv20rocsparse_direction_T3_S2_llNS_24const_host_device_scalarIT7_EEPKT2_PKS2_PKT4_PKT5_llS5_PT6_ll16rocsparse_order_21rocsparse_index_base_b
	.p2align	8
	.type	_ZN9rocsparseL29bsrmmnn_small_blockdim_kernelILj64ELj8ELj2EliaaffEEv20rocsparse_direction_T3_S2_llNS_24const_host_device_scalarIT7_EEPKT2_PKS2_PKT4_PKT5_llS5_PT6_ll16rocsparse_order_21rocsparse_index_base_b,@function
_ZN9rocsparseL29bsrmmnn_small_blockdim_kernelILj64ELj8ELj2EliaaffEEv20rocsparse_direction_T3_S2_llNS_24const_host_device_scalarIT7_EEPKT2_PKS2_PKT4_PKT5_llS5_PT6_ll16rocsparse_order_21rocsparse_index_base_b: ; @_ZN9rocsparseL29bsrmmnn_small_blockdim_kernelILj64ELj8ELj2EliaaffEEv20rocsparse_direction_T3_S2_llNS_24const_host_device_scalarIT7_EEPKT2_PKS2_PKT4_PKT5_llS5_PT6_ll16rocsparse_order_21rocsparse_index_base_b
; %bb.0:
	s_clause 0x2
	s_load_b96 s[16:18], s[0:1], 0x78
	s_load_b64 s[2:3], s[0:1], 0x20
	s_load_b64 s[24:25], s[0:1], 0x58
	s_wait_kmcnt 0x0
	s_bitcmp1_b32 s18, 0
	s_cselect_b32 s4, -1, 0
	s_delay_alu instid0(SALU_CYCLE_1)
	s_and_b32 vcc_lo, exec_lo, s4
	s_xor_b32 s4, s4, -1
	s_cbranch_vccnz .LBB19_2
; %bb.1:
	s_load_b32 s2, s[2:3], 0x0
.LBB19_2:
	s_and_not1_b32 vcc_lo, exec_lo, s4
	s_cbranch_vccnz .LBB19_4
; %bb.3:
	s_load_b32 s24, s[24:25], 0x0
.LBB19_4:
	s_wait_kmcnt 0x0
	s_cmp_eq_f32 s2, 0
	s_mov_b32 s5, 0
	s_cselect_b32 s3, -1, 0
	s_cmp_eq_f32 s24, 1.0
	s_cselect_b32 s4, -1, 0
	s_delay_alu instid0(SALU_CYCLE_1) | instskip(NEXT) | instid1(SALU_CYCLE_1)
	s_and_b32 s3, s3, s4
	s_and_b32 vcc_lo, exec_lo, s3
	s_cbranch_vccnz .LBB19_28
; %bb.5:
	s_load_b32 s3, s[0:1], 0x88
	s_bfe_u32 s4, ttmp6, 0x4000c
	s_and_b32 s7, ttmp6, 15
	s_add_co_i32 s4, s4, 1
	s_getreg_b32 s6, hwreg(HW_REG_IB_STS2, 6, 4)
	s_mul_i32 s4, ttmp9, s4
	s_add_nc_u64 s[8:9], s[0:1], 0x88
	s_add_co_i32 s7, s7, s4
	s_cmp_eq_u32 s6, 0
	s_cselect_b32 s7, ttmp9, s7
	s_wait_kmcnt 0x0
	s_cmp_lt_u32 s7, s3
	s_cselect_b32 s4, 12, 18
	s_delay_alu instid0(SALU_CYCLE_1)
	s_add_nc_u64 s[8:9], s[8:9], s[4:5]
	s_mov_b32 s5, exec_lo
	s_load_u16 s4, s[8:9], 0x0
	s_load_b96 s[20:22], s[0:1], 0x0
	s_wait_kmcnt 0x0
	v_mad_u32 v1, s7, s4, v0
	s_delay_alu instid0(VALU_DEP_1) | instskip(NEXT) | instid1(VALU_DEP_1)
	v_lshrrev_b32_e32 v4, 4, v1
	v_cmpx_gt_i32_e64 s21, v4
	s_cbranch_execz .LBB19_28
; %bb.6:
	s_bfe_u32 s5, ttmp6, 0x40010
	s_load_b128 s[12:15], s[0:1], 0x60
	s_add_co_i32 s5, s5, 1
	s_mul_i32 s3, s3, s4
	s_mul_i32 s4, ttmp7, s5
	s_bfe_u32 s5, ttmp6, 0x40004
	s_lshr_b32 s3, s3, 4
	v_dual_mov_b32 v5, 0 :: v_dual_bitop2_b32 v6, 7, v1 bitop3:0x40
	s_add_co_i32 s5, s5, s4
	s_cmp_eq_u32 s6, 0
	v_lshrrev_b32_e32 v0, 3, v0
	s_cselect_b32 s4, ttmp7, s5
	v_mov_b32_e32 v11, v5
	v_lshl_or_b32 v2, s4, 3, v6
	s_clause 0x1
	s_load_b256 s[4:11], s[0:1], 0x28
	s_load_b64 s[18:19], s[0:1], 0x48
	v_lshrrev_b32_e32 v10, 3, v1
	s_cmp_neq_f32 s24, 0
	v_bfe_u32 v16, v1, 3, 1
	v_dual_ashrrev_i32 v3, 31, v2 :: v_dual_mov_b32 v7, v5
	v_lshlrev_b32_e32 v22, 5, v0
	s_wait_kmcnt 0x0
	v_mul_u64_e32 v[14:15], s[14:15], v[10:11]
	s_cselect_b32 s1, -1, 0
	v_mul_u64_e32 v[12:13], s[14:15], v[2:3]
	s_cmp_lg_u32 s16, 1
	v_mul_u32_u24_e32 v11, 24, v0
	v_dual_mov_b32 v1, v5 :: v_dual_lshlrev_b32 v0, 2, v10
	v_lshl_add_u64 v[18:19], v[2:3], 2, s[12:13]
	v_mul_u32_u24_e32 v25, 3, v6
	s_delay_alu instid0(VALU_DEP_4)
	v_or_b32_e32 v24, 0x100, v11
	s_mov_b32 s15, 0
	s_mov_b32 s14, s17
	v_lshl_or_b32 v23, v6, 2, v22
	v_mad_nc_u64_u32 v[8:9], s18, v2, s[10:11]
	s_cselect_b32 s10, -1, 0
	s_cmp_eq_u32 s20, 0
	v_sub_nc_u64_e64 v[10:11], v[6:7], s[14:15]
	s_cselect_b32 s11, -1, 0
	v_cmp_gt_i32_e64 s0, s22, v2
	v_cndmask_b32_e64 v26, 0, 1, s11
	v_dual_mov_b32 v17, v5 :: v_dual_add_nc_u32 v25, v24, v25
	v_mad_u32 v9, s19, v2, v9
	s_delay_alu instid0(VALU_DEP_3) | instskip(NEXT) | instid1(VALU_DEP_1)
	v_lshlrev_b32_e32 v16, v26, v16
	v_add_nc_u64_e32 v[16:17], s[8:9], v[16:17]
	s_and_b32 s8, s11, exec_lo
	s_cselect_b32 s8, 1, 2
	s_mov_b32 s9, s15
	v_lshl_add_u64 v[20:21], v[12:13], 2, s[12:13]
	s_delay_alu instid0(VALU_DEP_4) | instskip(SKIP_2) | instid1(VALU_DEP_3)
	v_mad_u32 v9, s18, v3, v9
	v_lshl_add_u64 v[12:13], v[14:15], 2, v[18:19]
	s_mov_b32 s11, s15
	v_add_nc_u64_e32 v[14:15], v[20:21], v[0:1]
	s_branch .LBB19_8
.LBB19_7:                               ;   in Loop: Header=BB19_8 Depth=1
	s_wait_xcnt 0x0
	s_or_b32 exec_lo, exec_lo, s12
	v_add_nc_u32_e32 v4, s3, v4
	s_delay_alu instid0(VALU_DEP_1) | instskip(SKIP_1) | instid1(SALU_CYCLE_1)
	v_cmp_le_i32_e32 vcc_lo, s21, v4
	s_or_b32 s11, vcc_lo, s11
	s_and_not1_b32 exec_lo, exec_lo, s11
	s_cbranch_execz .LBB19_28
.LBB19_8:                               ; =>This Loop Header: Depth=1
                                        ;     Child Loop BB19_11 Depth 2
	v_lshl_add_u64 v[0:1], v[4:5], 3, s[4:5]
	v_mov_b32_e32 v26, 0
	s_mov_b32 s12, exec_lo
	global_load_b128 v[0:3], v[0:1], off
	s_wait_loadcnt 0x0
	s_wait_xcnt 0x0
	v_cmpx_lt_i64_e64 v[0:1], v[2:3]
	s_cbranch_execz .LBB19_16
; %bb.9:                                ;   in Loop: Header=BB19_8 Depth=1
	v_add_nc_u64_e32 v[18:19], v[10:11], v[0:1]
	v_sub_nc_u64_e64 v[2:3], v[2:3], s[14:15]
	v_sub_nc_u64_e64 v[0:1], v[0:1], s[14:15]
	v_mov_b32_e32 v26, 0
	s_mov_b32 s13, 0
	s_delay_alu instid0(VALU_DEP_4) | instskip(NEXT) | instid1(VALU_DEP_1)
	v_lshlrev_b64_e32 v[20:21], 2, v[18:19]
	v_add_nc_u64_e32 v[18:19], s[6:7], v[20:21]
	v_add_nc_u64_e32 v[20:21], v[16:17], v[20:21]
	s_branch .LBB19_11
.LBB19_10:                              ;   in Loop: Header=BB19_11 Depth=2
	s_or_b32 exec_lo, exec_lo, s16
	v_add_nc_u64_e32 v[0:1], 8, v[0:1]
	v_add_nc_u64_e32 v[18:19], 32, v[18:19]
	;; [unrolled: 1-line block ×3, first 2 shown]
	s_delay_alu instid0(VALU_DEP_3) | instskip(SKIP_1) | instid1(SALU_CYCLE_1)
	v_cmp_ge_i64_e32 vcc_lo, v[0:1], v[2:3]
	s_or_b32 s13, vcc_lo, s13
	s_and_not1_b32 exec_lo, exec_lo, s13
	s_cbranch_execz .LBB19_15
.LBB19_11:                              ;   Parent Loop BB19_8 Depth=1
                                        ; =>  This Inner Loop Header: Depth=2
	v_add_nc_u64_e32 v[28:29], v[6:7], v[0:1]
	v_mov_b32_e32 v27, 0
	s_delay_alu instid0(VALU_DEP_2)
	v_cmp_lt_i64_e32 vcc_lo, v[28:29], v[2:3]
	v_dual_mov_b32 v29, 0 :: v_dual_mov_b32 v28, 0
	s_and_saveexec_b32 s16, vcc_lo
	s_cbranch_execz .LBB19_13
; %bb.12:                               ;   in Loop: Header=BB19_11 Depth=2
	global_load_b32 v29, v[18:19], off
	v_add_nc_u64_e32 v[30:31], s[8:9], v[20:21]
	s_clause 0x1
	global_load_u8 v27, v[20:21], off
	global_load_u8 v28, v[30:31], off
	s_wait_loadcnt 0x2
	v_subrev_nc_u32_e32 v29, s17, v29
	s_delay_alu instid0(VALU_DEP_1)
	v_lshlrev_b32_e32 v29, 1, v29
.LBB19_13:                              ;   in Loop: Header=BB19_11 Depth=2
	s_wait_xcnt 0x0
	s_or_b32 exec_lo, exec_lo, s16
	ds_store_b32 v23, v29
	s_wait_loadcnt 0x1
	ds_store_b8 v25, v27
	s_wait_loadcnt 0x0
	ds_store_b8 v25, v28 offset:1
	s_wait_dscnt 0x0
	s_barrier_signal -1
	s_barrier_wait -1
	s_and_saveexec_b32 s16, s0
	s_cbranch_execz .LBB19_10
; %bb.14:                               ;   in Loop: Header=BB19_11 Depth=2
	ds_load_b128 v[28:31], v22
	ds_load_b128 v[32:35], v22 offset:16
	s_wait_dscnt 0x1
	v_dual_mov_b32 v36, v28 :: v_dual_ashrrev_i32 v37, 31, v28
	v_dual_mov_b32 v38, v29 :: v_dual_ashrrev_i32 v39, 31, v29
	s_delay_alu instid0(VALU_DEP_2) | instskip(NEXT) | instid1(VALU_DEP_2)
	v_add_nc_u64_e32 v[36:37], v[8:9], v[36:37]
	v_add_nc_u64_e32 v[28:29], v[8:9], v[38:39]
	s_clause 0x1
	global_load_u16 v27, v[36:37], off
	global_load_u16 v38, v[28:29], off
	s_wait_xcnt 0x1
	v_dual_mov_b32 v36, v30 :: v_dual_ashrrev_i32 v37, 31, v30
	s_wait_dscnt 0x0
	v_mov_b32_e32 v30, v32
	s_wait_xcnt 0x0
	s_delay_alu instid0(VALU_DEP_2)
	v_add_nc_u64_e32 v[28:29], v[8:9], v[36:37]
	v_dual_mov_b32 v36, v31 :: v_dual_ashrrev_i32 v37, 31, v31
	v_ashrrev_i32_e32 v31, 31, v32
	global_load_u16 v39, v[28:29], off
	s_wait_xcnt 0x0
	v_add_nc_u64_e32 v[28:29], v[8:9], v[36:37]
	global_load_u16 v32, v[28:29], off
	s_wait_xcnt 0x0
	v_add_nc_u64_e32 v[28:29], v[8:9], v[30:31]
	v_dual_mov_b32 v30, v33 :: v_dual_ashrrev_i32 v31, 31, v33
	global_load_u16 v33, v[28:29], off
	s_wait_xcnt 0x0
	v_add_nc_u64_e32 v[28:29], v[8:9], v[30:31]
	v_dual_mov_b32 v30, v34 :: v_dual_ashrrev_i32 v31, 31, v34
	global_load_u16 v34, v[28:29], off
	s_wait_xcnt 0x0
	v_add_nc_u64_e32 v[28:29], v[8:9], v[30:31]
	v_dual_mov_b32 v30, v35 :: v_dual_ashrrev_i32 v31, 31, v35
	global_load_u16 v35, v[28:29], off
	s_wait_xcnt 0x0
	v_add_nc_u64_e32 v[28:29], v[8:9], v[30:31]
	global_load_u16 v28, v[28:29], off
	s_wait_xcnt 0x0
	ds_load_u16 v29, v24
	ds_load_i8 v30, v24 offset:3
	ds_load_i8 v31, v24 offset:4
	ds_load_u16 v36, v24 offset:6
	ds_load_i8 v37, v24 offset:9
	ds_load_i8 v40, v24 offset:10
	ds_load_u16 v41, v24 offset:12
	;; [unrolled: 3-line block ×3, first 2 shown]
	ds_load_i8 v45, v24 offset:21
	ds_load_i8 v46, v24 offset:22
	s_wait_dscnt 0xb
	v_bfe_i32 v47, v29, 0, 8
	v_ashrrev_i16 v29, 8, v29
	s_wait_dscnt 0xa
	v_cvt_f32_i32_e32 v30, v30
	s_wait_dscnt 0x8
	v_bfe_i32 v48, v36, 0, 8
	v_ashrrev_i16 v36, 8, v36
	v_bfe_i32 v47, v47, 0, 16
	v_bfe_i32 v29, v29, 0, 16
	v_cvt_f32_i32_e32 v31, v31
	s_wait_dscnt 0x7
	v_cvt_f32_i32_e32 v37, v37
	s_wait_dscnt 0x5
	v_bfe_i32 v49, v41, 0, 8
	v_cvt_f32_i32_e32 v47, v47
	v_cvt_f32_i32_e32 v29, v29
	;; [unrolled: 1-line block ×3, first 2 shown]
	v_ashrrev_i16 v41, 8, v41
	s_wait_dscnt 0x4
	v_cvt_f32_i32_e32 v42, v42
	s_wait_dscnt 0x2
	v_bfe_i32 v51, v44, 0, 8
	v_cvt_f32_i32_e32 v43, v43
	v_ashrrev_i16 v44, 8, v44
	s_wait_loadcnt 0x7
	v_bfe_i32 v50, v27, 0, 8
	v_ashrrev_i16 v27, 8, v27
	s_wait_loadcnt 0x6
	v_bfe_i32 v52, v38, 0, 8
	v_ashrrev_i16 v38, 8, v38
	v_bfe_i32 v50, v50, 0, 16
	v_bfe_i32 v27, v27, 0, 16
	s_delay_alu instid0(VALU_DEP_4) | instskip(NEXT) | instid1(VALU_DEP_4)
	v_bfe_i32 v52, v52, 0, 16
	v_bfe_i32 v38, v38, 0, 16
	s_delay_alu instid0(VALU_DEP_4) | instskip(NEXT) | instid1(VALU_DEP_4)
	v_cvt_f32_i32_e32 v50, v50
	v_cvt_f32_i32_e32 v27, v27
	s_delay_alu instid0(VALU_DEP_3) | instskip(NEXT) | instid1(VALU_DEP_3)
	v_cvt_f32_i32_e32 v38, v38
	v_fmac_f32_e32 v26, v47, v50
	v_bfe_i32 v47, v48, 0, 16
	s_wait_loadcnt 0x5
	v_bfe_i32 v48, v39, 0, 8
	v_cvt_f32_i32_e32 v50, v52
	v_fmac_f32_e32 v26, v29, v27
	v_bfe_i32 v27, v36, 0, 16
	v_ashrrev_i16 v29, 8, v39
	v_bfe_i32 v36, v48, 0, 16
	s_wait_loadcnt 0x4
	v_bfe_i32 v39, v32, 0, 8
	v_fmac_f32_e32 v26, v30, v50
	v_cvt_f32_i32_e32 v30, v47
	v_bfe_i32 v29, v29, 0, 16
	v_cvt_f32_i32_e32 v36, v36
	v_cvt_f32_i32_e32 v27, v27
	v_fmac_f32_e32 v26, v31, v38
	v_ashrrev_i16 v31, 8, v32
	v_bfe_i32 v32, v39, 0, 16
	v_cvt_f32_i32_e32 v29, v29
	s_delay_alu instid0(VALU_DEP_4)
	v_fmac_f32_e32 v26, v30, v36
	s_wait_loadcnt 0x3
	v_bfe_i32 v36, v33, 0, 8
	v_bfe_i32 v31, v31, 0, 16
	v_cvt_f32_i32_e32 v32, v32
	v_bfe_i32 v30, v49, 0, 16
	v_fmac_f32_e32 v26, v27, v29
	v_ashrrev_i16 v29, 8, v33
	v_bfe_i32 v33, v36, 0, 16
	v_cvt_f32_i32_e32 v31, v31
	v_bfe_i32 v27, v41, 0, 16
	v_fmac_f32_e32 v26, v37, v32
	v_cvt_f32_i32_e32 v30, v30
	s_wait_loadcnt 0x2
	v_bfe_i32 v32, v34, 0, 8
	v_bfe_i32 v29, v29, 0, 16
	v_cvt_f32_i32_e32 v33, v33
	v_fmac_f32_e32 v26, v40, v31
	v_cvt_f32_i32_e32 v27, v27
	v_ashrrev_i16 v31, 8, v34
	v_bfe_i32 v32, v32, 0, 16
	v_cvt_f32_i32_e32 v29, v29
	v_fmac_f32_e32 v26, v30, v33
	s_wait_loadcnt 0x1
	v_bfe_i32 v33, v35, 0, 8
	v_bfe_i32 v31, v31, 0, 16
	v_cvt_f32_i32_e32 v32, v32
	v_bfe_i32 v30, v51, 0, 16
	v_fmac_f32_e32 v26, v27, v29
	v_ashrrev_i16 v29, 8, v35
	v_bfe_i32 v33, v33, 0, 16
	v_cvt_f32_i32_e32 v31, v31
	v_bfe_i32 v27, v44, 0, 16
	v_fmac_f32_e32 v26, v42, v32
	v_cvt_f32_i32_e32 v30, v30
	s_wait_loadcnt 0x0
	v_bfe_i32 v32, v28, 0, 8
	v_bfe_i32 v29, v29, 0, 16
	v_cvt_f32_i32_e32 v33, v33
	v_fmac_f32_e32 v26, v43, v31
	v_cvt_f32_i32_e32 v27, v27
	v_bfe_i32 v31, v32, 0, 16
	v_cvt_f32_i32_e32 v29, v29
	v_ashrrev_i16 v28, 8, v28
	v_fmac_f32_e32 v26, v30, v33
	s_wait_dscnt 0x1
	v_cvt_f32_i32_e32 v30, v45
	v_cvt_f32_i32_e32 v31, v31
	s_delay_alu instid0(VALU_DEP_3) | instskip(SKIP_3) | instid1(VALU_DEP_3)
	v_fmac_f32_e32 v26, v27, v29
	v_bfe_i32 v27, v28, 0, 16
	s_wait_dscnt 0x0
	v_cvt_f32_i32_e32 v28, v46
	v_fmac_f32_e32 v26, v30, v31
	s_delay_alu instid0(VALU_DEP_3) | instskip(NEXT) | instid1(VALU_DEP_1)
	v_cvt_f32_i32_e32 v27, v27
	v_fmac_f32_e32 v26, v28, v27
	s_branch .LBB19_10
.LBB19_15:                              ;   in Loop: Header=BB19_8 Depth=1
	s_or_b32 exec_lo, exec_lo, s13
.LBB19_16:                              ;   in Loop: Header=BB19_8 Depth=1
	s_delay_alu instid0(SALU_CYCLE_1)
	s_or_b32 exec_lo, exec_lo, s12
	s_and_saveexec_b32 s12, s0
	s_cbranch_execz .LBB19_7
; %bb.17:                               ;   in Loop: Header=BB19_8 Depth=1
	v_mul_f32_e32 v0, s2, v26
	s_and_b32 vcc_lo, exec_lo, s1
	s_cbranch_vccz .LBB19_23
; %bb.18:                               ;   in Loop: Header=BB19_8 Depth=1
	s_and_b32 vcc_lo, exec_lo, s10
	s_mov_b32 s13, -1
	s_cbranch_vccz .LBB19_20
; %bb.19:                               ;   in Loop: Header=BB19_8 Depth=1
	global_load_b32 v1, v[12:13], off
	s_mov_b32 s13, 0
	s_wait_loadcnt 0x0
	v_fma_f32 v1, s24, v1, v0
	global_store_b32 v[12:13], v1, off
.LBB19_20:                              ;   in Loop: Header=BB19_8 Depth=1
	s_and_not1_b32 vcc_lo, exec_lo, s13
	s_cbranch_vccnz .LBB19_22
; %bb.21:                               ;   in Loop: Header=BB19_8 Depth=1
	global_load_b32 v1, v[14:15], off
	s_wait_loadcnt 0x0
	v_fma_f32 v1, s24, v1, v0
	global_store_b32 v[14:15], v1, off
.LBB19_22:                              ;   in Loop: Header=BB19_8 Depth=1
	s_cbranch_execnz .LBB19_7
	s_branch .LBB19_24
.LBB19_23:                              ;   in Loop: Header=BB19_8 Depth=1
.LBB19_24:                              ;   in Loop: Header=BB19_8 Depth=1
	s_and_b32 vcc_lo, exec_lo, s10
	s_mov_b32 s13, -1
	s_cbranch_vccz .LBB19_26
; %bb.25:                               ;   in Loop: Header=BB19_8 Depth=1
	s_mov_b32 s13, 0
	global_store_b32 v[12:13], v0, off
.LBB19_26:                              ;   in Loop: Header=BB19_8 Depth=1
	s_and_not1_b32 vcc_lo, exec_lo, s13
	s_cbranch_vccnz .LBB19_7
; %bb.27:                               ;   in Loop: Header=BB19_8 Depth=1
	global_store_b32 v[14:15], v0, off
	s_branch .LBB19_7
.LBB19_28:
	s_endpgm
	.section	.rodata,"a",@progbits
	.p2align	6, 0x0
	.amdhsa_kernel _ZN9rocsparseL29bsrmmnn_small_blockdim_kernelILj64ELj8ELj2EliaaffEEv20rocsparse_direction_T3_S2_llNS_24const_host_device_scalarIT7_EEPKT2_PKS2_PKT4_PKT5_llS5_PT6_ll16rocsparse_order_21rocsparse_index_base_b
		.amdhsa_group_segment_fixed_size 448
		.amdhsa_private_segment_fixed_size 0
		.amdhsa_kernarg_size 392
		.amdhsa_user_sgpr_count 2
		.amdhsa_user_sgpr_dispatch_ptr 0
		.amdhsa_user_sgpr_queue_ptr 0
		.amdhsa_user_sgpr_kernarg_segment_ptr 1
		.amdhsa_user_sgpr_dispatch_id 0
		.amdhsa_user_sgpr_kernarg_preload_length 0
		.amdhsa_user_sgpr_kernarg_preload_offset 0
		.amdhsa_user_sgpr_private_segment_size 0
		.amdhsa_wavefront_size32 1
		.amdhsa_uses_dynamic_stack 0
		.amdhsa_enable_private_segment 0
		.amdhsa_system_sgpr_workgroup_id_x 1
		.amdhsa_system_sgpr_workgroup_id_y 1
		.amdhsa_system_sgpr_workgroup_id_z 0
		.amdhsa_system_sgpr_workgroup_info 0
		.amdhsa_system_vgpr_workitem_id 0
		.amdhsa_next_free_vgpr 53
		.amdhsa_next_free_sgpr 26
		.amdhsa_named_barrier_count 0
		.amdhsa_reserve_vcc 1
		.amdhsa_float_round_mode_32 0
		.amdhsa_float_round_mode_16_64 0
		.amdhsa_float_denorm_mode_32 3
		.amdhsa_float_denorm_mode_16_64 3
		.amdhsa_fp16_overflow 0
		.amdhsa_memory_ordered 1
		.amdhsa_forward_progress 1
		.amdhsa_inst_pref_size 17
		.amdhsa_round_robin_scheduling 0
		.amdhsa_exception_fp_ieee_invalid_op 0
		.amdhsa_exception_fp_denorm_src 0
		.amdhsa_exception_fp_ieee_div_zero 0
		.amdhsa_exception_fp_ieee_overflow 0
		.amdhsa_exception_fp_ieee_underflow 0
		.amdhsa_exception_fp_ieee_inexact 0
		.amdhsa_exception_int_div_zero 0
	.end_amdhsa_kernel
	.section	.text._ZN9rocsparseL29bsrmmnn_small_blockdim_kernelILj64ELj8ELj2EliaaffEEv20rocsparse_direction_T3_S2_llNS_24const_host_device_scalarIT7_EEPKT2_PKS2_PKT4_PKT5_llS5_PT6_ll16rocsparse_order_21rocsparse_index_base_b,"axG",@progbits,_ZN9rocsparseL29bsrmmnn_small_blockdim_kernelILj64ELj8ELj2EliaaffEEv20rocsparse_direction_T3_S2_llNS_24const_host_device_scalarIT7_EEPKT2_PKS2_PKT4_PKT5_llS5_PT6_ll16rocsparse_order_21rocsparse_index_base_b,comdat
.Lfunc_end19:
	.size	_ZN9rocsparseL29bsrmmnn_small_blockdim_kernelILj64ELj8ELj2EliaaffEEv20rocsparse_direction_T3_S2_llNS_24const_host_device_scalarIT7_EEPKT2_PKS2_PKT4_PKT5_llS5_PT6_ll16rocsparse_order_21rocsparse_index_base_b, .Lfunc_end19-_ZN9rocsparseL29bsrmmnn_small_blockdim_kernelILj64ELj8ELj2EliaaffEEv20rocsparse_direction_T3_S2_llNS_24const_host_device_scalarIT7_EEPKT2_PKS2_PKT4_PKT5_llS5_PT6_ll16rocsparse_order_21rocsparse_index_base_b
                                        ; -- End function
	.set _ZN9rocsparseL29bsrmmnn_small_blockdim_kernelILj64ELj8ELj2EliaaffEEv20rocsparse_direction_T3_S2_llNS_24const_host_device_scalarIT7_EEPKT2_PKS2_PKT4_PKT5_llS5_PT6_ll16rocsparse_order_21rocsparse_index_base_b.num_vgpr, 53
	.set _ZN9rocsparseL29bsrmmnn_small_blockdim_kernelILj64ELj8ELj2EliaaffEEv20rocsparse_direction_T3_S2_llNS_24const_host_device_scalarIT7_EEPKT2_PKS2_PKT4_PKT5_llS5_PT6_ll16rocsparse_order_21rocsparse_index_base_b.num_agpr, 0
	.set _ZN9rocsparseL29bsrmmnn_small_blockdim_kernelILj64ELj8ELj2EliaaffEEv20rocsparse_direction_T3_S2_llNS_24const_host_device_scalarIT7_EEPKT2_PKS2_PKT4_PKT5_llS5_PT6_ll16rocsparse_order_21rocsparse_index_base_b.numbered_sgpr, 26
	.set _ZN9rocsparseL29bsrmmnn_small_blockdim_kernelILj64ELj8ELj2EliaaffEEv20rocsparse_direction_T3_S2_llNS_24const_host_device_scalarIT7_EEPKT2_PKS2_PKT4_PKT5_llS5_PT6_ll16rocsparse_order_21rocsparse_index_base_b.num_named_barrier, 0
	.set _ZN9rocsparseL29bsrmmnn_small_blockdim_kernelILj64ELj8ELj2EliaaffEEv20rocsparse_direction_T3_S2_llNS_24const_host_device_scalarIT7_EEPKT2_PKS2_PKT4_PKT5_llS5_PT6_ll16rocsparse_order_21rocsparse_index_base_b.private_seg_size, 0
	.set _ZN9rocsparseL29bsrmmnn_small_blockdim_kernelILj64ELj8ELj2EliaaffEEv20rocsparse_direction_T3_S2_llNS_24const_host_device_scalarIT7_EEPKT2_PKS2_PKT4_PKT5_llS5_PT6_ll16rocsparse_order_21rocsparse_index_base_b.uses_vcc, 1
	.set _ZN9rocsparseL29bsrmmnn_small_blockdim_kernelILj64ELj8ELj2EliaaffEEv20rocsparse_direction_T3_S2_llNS_24const_host_device_scalarIT7_EEPKT2_PKS2_PKT4_PKT5_llS5_PT6_ll16rocsparse_order_21rocsparse_index_base_b.uses_flat_scratch, 0
	.set _ZN9rocsparseL29bsrmmnn_small_blockdim_kernelILj64ELj8ELj2EliaaffEEv20rocsparse_direction_T3_S2_llNS_24const_host_device_scalarIT7_EEPKT2_PKS2_PKT4_PKT5_llS5_PT6_ll16rocsparse_order_21rocsparse_index_base_b.has_dyn_sized_stack, 0
	.set _ZN9rocsparseL29bsrmmnn_small_blockdim_kernelILj64ELj8ELj2EliaaffEEv20rocsparse_direction_T3_S2_llNS_24const_host_device_scalarIT7_EEPKT2_PKS2_PKT4_PKT5_llS5_PT6_ll16rocsparse_order_21rocsparse_index_base_b.has_recursion, 0
	.set _ZN9rocsparseL29bsrmmnn_small_blockdim_kernelILj64ELj8ELj2EliaaffEEv20rocsparse_direction_T3_S2_llNS_24const_host_device_scalarIT7_EEPKT2_PKS2_PKT4_PKT5_llS5_PT6_ll16rocsparse_order_21rocsparse_index_base_b.has_indirect_call, 0
	.section	.AMDGPU.csdata,"",@progbits
; Kernel info:
; codeLenInByte = 2112
; TotalNumSgprs: 28
; NumVgprs: 53
; ScratchSize: 0
; MemoryBound: 0
; FloatMode: 240
; IeeeMode: 1
; LDSByteSize: 448 bytes/workgroup (compile time only)
; SGPRBlocks: 0
; VGPRBlocks: 3
; NumSGPRsForWavesPerEU: 28
; NumVGPRsForWavesPerEU: 53
; NamedBarCnt: 0
; Occupancy: 16
; WaveLimiterHint : 0
; COMPUTE_PGM_RSRC2:SCRATCH_EN: 0
; COMPUTE_PGM_RSRC2:USER_SGPR: 2
; COMPUTE_PGM_RSRC2:TRAP_HANDLER: 0
; COMPUTE_PGM_RSRC2:TGID_X_EN: 1
; COMPUTE_PGM_RSRC2:TGID_Y_EN: 1
; COMPUTE_PGM_RSRC2:TGID_Z_EN: 0
; COMPUTE_PGM_RSRC2:TIDIG_COMP_CNT: 0
	.section	.text._ZN9rocsparseL29bsrmmnn_small_blockdim_kernelILj64ELj8ELj2EllaaffEEv20rocsparse_direction_T3_S2_llNS_24const_host_device_scalarIT7_EEPKT2_PKS2_PKT4_PKT5_llS5_PT6_ll16rocsparse_order_21rocsparse_index_base_b,"axG",@progbits,_ZN9rocsparseL29bsrmmnn_small_blockdim_kernelILj64ELj8ELj2EllaaffEEv20rocsparse_direction_T3_S2_llNS_24const_host_device_scalarIT7_EEPKT2_PKS2_PKT4_PKT5_llS5_PT6_ll16rocsparse_order_21rocsparse_index_base_b,comdat
	.globl	_ZN9rocsparseL29bsrmmnn_small_blockdim_kernelILj64ELj8ELj2EllaaffEEv20rocsparse_direction_T3_S2_llNS_24const_host_device_scalarIT7_EEPKT2_PKS2_PKT4_PKT5_llS5_PT6_ll16rocsparse_order_21rocsparse_index_base_b ; -- Begin function _ZN9rocsparseL29bsrmmnn_small_blockdim_kernelILj64ELj8ELj2EllaaffEEv20rocsparse_direction_T3_S2_llNS_24const_host_device_scalarIT7_EEPKT2_PKS2_PKT4_PKT5_llS5_PT6_ll16rocsparse_order_21rocsparse_index_base_b
	.p2align	8
	.type	_ZN9rocsparseL29bsrmmnn_small_blockdim_kernelILj64ELj8ELj2EllaaffEEv20rocsparse_direction_T3_S2_llNS_24const_host_device_scalarIT7_EEPKT2_PKS2_PKT4_PKT5_llS5_PT6_ll16rocsparse_order_21rocsparse_index_base_b,@function
_ZN9rocsparseL29bsrmmnn_small_blockdim_kernelILj64ELj8ELj2EllaaffEEv20rocsparse_direction_T3_S2_llNS_24const_host_device_scalarIT7_EEPKT2_PKS2_PKT4_PKT5_llS5_PT6_ll16rocsparse_order_21rocsparse_index_base_b: ; @_ZN9rocsparseL29bsrmmnn_small_blockdim_kernelILj64ELj8ELj2EllaaffEEv20rocsparse_direction_T3_S2_llNS_24const_host_device_scalarIT7_EEPKT2_PKS2_PKT4_PKT5_llS5_PT6_ll16rocsparse_order_21rocsparse_index_base_b
; %bb.0:
	s_clause 0x2
	s_load_b96 s[20:22], s[0:1], 0x80
	s_load_b64 s[2:3], s[0:1], 0x28
	s_load_b64 s[24:25], s[0:1], 0x60
	s_wait_kmcnt 0x0
	s_bitcmp1_b32 s22, 0
	s_cselect_b32 s4, -1, 0
	s_delay_alu instid0(SALU_CYCLE_1)
	s_and_b32 vcc_lo, exec_lo, s4
	s_xor_b32 s4, s4, -1
	s_cbranch_vccnz .LBB20_2
; %bb.1:
	s_load_b32 s2, s[2:3], 0x0
.LBB20_2:
	s_and_not1_b32 vcc_lo, exec_lo, s4
	s_cbranch_vccnz .LBB20_4
; %bb.3:
	s_load_b32 s24, s[24:25], 0x0
.LBB20_4:
	s_wait_kmcnt 0x0
	s_cmp_eq_f32 s2, 0
	s_mov_b32 s5, 0
	s_cselect_b32 s3, -1, 0
	s_cmp_eq_f32 s24, 1.0
	s_cselect_b32 s4, -1, 0
	s_delay_alu instid0(SALU_CYCLE_1) | instskip(NEXT) | instid1(SALU_CYCLE_1)
	s_and_b32 s3, s3, s4
	s_and_b32 vcc_lo, exec_lo, s3
	s_cbranch_vccnz .LBB20_28
; %bb.5:
	s_load_b32 s3, s[0:1], 0x90
	s_bfe_u32 s4, ttmp6, 0x4000c
	s_and_b32 s7, ttmp6, 15
	s_add_co_i32 s4, s4, 1
	s_getreg_b32 s6, hwreg(HW_REG_IB_STS2, 6, 4)
	s_mul_i32 s4, ttmp9, s4
	s_add_nc_u64 s[8:9], s[0:1], 0x90
	s_add_co_i32 s7, s7, s4
	s_cmp_eq_u32 s6, 0
	s_cselect_b32 s7, ttmp9, s7
	s_wait_kmcnt 0x0
	s_cmp_lt_u32 s7, s3
	s_cselect_b32 s4, 12, 18
	s_delay_alu instid0(SALU_CYCLE_1)
	s_add_nc_u64 s[8:9], s[8:9], s[4:5]
	s_mov_b32 s5, exec_lo
	s_load_u16 s4, s[8:9], 0x0
	s_load_b128 s[12:15], s[0:1], 0x8
	s_wait_kmcnt 0x0
	v_mad_u32 v1, s7, s4, v0
	s_delay_alu instid0(VALU_DEP_1) | instskip(NEXT) | instid1(VALU_DEP_1)
	v_dual_mov_b32 v5, 0 :: v_dual_lshrrev_b32 v4, 4, v1
	v_cmpx_gt_i64_e64 s[12:13], v[4:5]
	s_cbranch_execz .LBB20_28
; %bb.6:
	s_load_b128 s[16:19], s[0:1], 0x68
	s_bfe_u32 s5, ttmp6, 0x40010
	s_mul_i32 s3, s3, s4
	s_add_co_i32 s5, s5, 1
	v_mov_b64_e32 v[6:7], v[4:5]
	s_mul_i32 s4, ttmp7, s5
	s_bfe_u32 s5, ttmp6, 0x40004
	v_dual_mov_b32 v3, v5 :: v_dual_bitop2_b32 v4, 7, v1 bitop3:0x40
	s_lshr_b32 s22, s3, 4
	s_add_co_i32 s5, s5, s4
	s_cmp_eq_u32 s6, 0
	v_dual_mov_b32 v9, v5 :: v_dual_lshrrev_b32 v8, 3, v1
	s_cselect_b32 s3, ttmp7, s5
	s_load_b256 s[4:11], s[0:1], 0x30
	v_lshl_or_b32 v2, s3, 3, v4
	s_clause 0x1
	s_load_b32 s3, s[0:1], 0x0
	s_load_b64 s[26:27], s[0:1], 0x50
	v_dual_mov_b32 v13, v5 :: v_dual_lshrrev_b32 v0, 3, v0
	s_wait_kmcnt 0x0
	v_mul_u64_e32 v[14:15], s[18:19], v[8:9]
	v_mul_u64_e32 v[16:17], s[18:19], v[2:3]
	v_bfe_u32 v12, v1, 3, 1
	v_dual_mov_b32 v1, v5 :: v_dual_lshlrev_b32 v24, 6, v0
	v_mul_u32_u24_e32 v18, 24, v0
	v_lshlrev_b32_e32 v0, 2, v8
	s_mov_b32 s23, 0
	v_mul_u32_u24_e32 v20, 3, v4
	s_mov_b32 s18, s21
	v_or_b32_e32 v26, 0x200, v18
	v_add_nc_u64_e32 v[0:1], s[16:17], v[0:1]
	v_lshl_add_u64 v[18:19], v[2:3], 2, s[16:17]
	s_mov_b32 s19, s23
	v_cmp_gt_i64_e64 s0, s[14:15], v[2:3]
	v_sub_nc_u64_e64 v[8:9], v[4:5], s[18:19]
	s_cmp_eq_u32 s3, 0
	v_mad_nc_u64_u32 v[10:11], s26, v2, s[10:11]
	s_cselect_b32 s10, -1, 0
	s_cmp_neq_f32 s24, 0
	v_cndmask_b32_e64 v21, 0, 1, s10
	v_lshl_or_b32 v25, v4, 3, v24
	v_add_nc_u32_e32 v27, v26, v20
	s_cselect_b32 s1, -1, 0
	s_cmp_lg_u32 s20, 1
	v_lshlrev_b64_e32 v[12:13], v21, v[12:13]
	s_cselect_b32 s3, -1, 0
	s_and_b32 s10, s10, exec_lo
	v_mad_u32 v11, s27, v2, v11
	s_mov_b32 s10, s23
	s_delay_alu instid0(VALU_DEP_2)
	v_add_nc_u64_e32 v[12:13], s[8:9], v[12:13]
	v_lshl_add_u64 v[14:15], v[14:15], 2, v[18:19]
	v_lshl_add_u64 v[16:17], v[16:17], 2, v[0:1]
	s_cselect_b32 s8, 1, 2
	s_mov_b32 s9, s23
	s_branch .LBB20_8
.LBB20_7:                               ;   in Loop: Header=BB20_8 Depth=1
	s_wait_xcnt 0x0
	s_or_b32 exec_lo, exec_lo, s11
	v_add_nc_u64_e32 v[6:7], s[22:23], v[6:7]
	s_delay_alu instid0(VALU_DEP_1) | instskip(SKIP_1) | instid1(SALU_CYCLE_1)
	v_cmp_le_i64_e32 vcc_lo, s[12:13], v[6:7]
	s_or_b32 s10, vcc_lo, s10
	s_and_not1_b32 exec_lo, exec_lo, s10
	s_cbranch_execz .LBB20_28
.LBB20_8:                               ; =>This Loop Header: Depth=1
                                        ;     Child Loop BB20_11 Depth 2
	v_lshl_add_u64 v[0:1], v[6:7], 3, s[4:5]
	v_mov_b32_e32 v28, 0
	s_mov_b32 s11, exec_lo
	global_load_b128 v[0:3], v[0:1], off
	s_wait_loadcnt 0x0
	s_wait_xcnt 0x0
	v_cmpx_lt_i64_e64 v[0:1], v[2:3]
	s_cbranch_execz .LBB20_16
; %bb.9:                                ;   in Loop: Header=BB20_8 Depth=1
	v_add_nc_u64_e32 v[20:21], v[8:9], v[0:1]
	v_sub_nc_u64_e64 v[2:3], v[2:3], s[18:19]
	v_sub_nc_u64_e64 v[0:1], v[0:1], s[18:19]
	v_mov_b32_e32 v28, 0
	s_mov_b32 s14, 0
	s_delay_alu instid0(VALU_DEP_4)
	v_lshl_add_u64 v[18:19], v[20:21], 3, s[6:7]
	v_lshl_add_u64 v[20:21], v[20:21], 2, v[12:13]
	s_branch .LBB20_11
.LBB20_10:                              ;   in Loop: Header=BB20_11 Depth=2
	s_or_b32 exec_lo, exec_lo, s15
	v_add_nc_u64_e32 v[0:1], 8, v[0:1]
	v_add_nc_u64_e32 v[18:19], 64, v[18:19]
	;; [unrolled: 1-line block ×3, first 2 shown]
	s_delay_alu instid0(VALU_DEP_3) | instskip(SKIP_1) | instid1(SALU_CYCLE_1)
	v_cmp_ge_i64_e32 vcc_lo, v[0:1], v[2:3]
	s_or_b32 s14, vcc_lo, s14
	s_and_not1_b32 exec_lo, exec_lo, s14
	s_cbranch_execz .LBB20_15
.LBB20_11:                              ;   Parent Loop BB20_8 Depth=1
                                        ; =>  This Inner Loop Header: Depth=2
	s_delay_alu instid0(VALU_DEP_4) | instskip(SKIP_1) | instid1(VALU_DEP_2)
	v_add_nc_u64_e32 v[22:23], v[4:5], v[0:1]
	v_dual_mov_b32 v29, 0 :: v_dual_mov_b32 v30, 0
	v_cmp_lt_i64_e32 vcc_lo, v[22:23], v[2:3]
	v_mov_b64_e32 v[22:23], 0
	s_and_saveexec_b32 s15, vcc_lo
	s_cbranch_execz .LBB20_13
; %bb.12:                               ;   in Loop: Header=BB20_11 Depth=2
	global_load_b64 v[22:23], v[18:19], off
	v_add_nc_u64_e32 v[32:33], s[8:9], v[20:21]
	s_clause 0x1
	global_load_u8 v29, v[20:21], off
	global_load_u8 v30, v[32:33], off
	s_wait_loadcnt 0x2
	v_sub_nc_u64_e64 v[22:23], v[22:23], s[18:19]
	s_delay_alu instid0(VALU_DEP_1)
	v_lshlrev_b64_e32 v[22:23], 1, v[22:23]
.LBB20_13:                              ;   in Loop: Header=BB20_11 Depth=2
	s_wait_xcnt 0x0
	s_or_b32 exec_lo, exec_lo, s15
	ds_store_b64 v25, v[22:23]
	s_wait_loadcnt 0x1
	ds_store_b8 v27, v29
	s_wait_loadcnt 0x0
	ds_store_b8 v27, v30 offset:1
	s_wait_dscnt 0x0
	s_barrier_signal -1
	s_barrier_wait -1
	s_and_saveexec_b32 s15, s0
	s_cbranch_execz .LBB20_10
; %bb.14:                               ;   in Loop: Header=BB20_11 Depth=2
	ds_load_b128 v[30:33], v24
	ds_load_b128 v[34:37], v24 offset:16
	s_wait_dscnt 0x1
	v_add_nc_u64_e32 v[22:23], v[10:11], v[30:31]
	global_load_u16 v29, v[22:23], off
	s_wait_xcnt 0x0
	v_add_nc_u64_e32 v[22:23], v[10:11], v[32:33]
	ds_load_b128 v[30:33], v24 offset:32
	global_load_u16 v38, v[22:23], off
	s_wait_dscnt 0x1
	s_wait_xcnt 0x0
	v_add_nc_u64_e32 v[22:23], v[10:11], v[34:35]
	global_load_u16 v39, v[22:23], off
	s_wait_xcnt 0x0
	v_add_nc_u64_e32 v[22:23], v[10:11], v[36:37]
	ds_load_b128 v[34:37], v24 offset:48
	global_load_u16 v40, v[22:23], off
	s_wait_dscnt 0x1
	s_wait_xcnt 0x0
	v_add_nc_u64_e32 v[22:23], v[10:11], v[30:31]
	global_load_u16 v30, v[22:23], off
	s_wait_xcnt 0x0
	v_add_nc_u64_e32 v[22:23], v[10:11], v[32:33]
	global_load_u16 v31, v[22:23], off
	s_wait_dscnt 0x0
	s_wait_xcnt 0x0
	v_add_nc_u64_e32 v[22:23], v[10:11], v[34:35]
	global_load_u16 v32, v[22:23], off
	s_wait_xcnt 0x0
	v_add_nc_u64_e32 v[22:23], v[10:11], v[36:37]
	global_load_u16 v22, v[22:23], off
	s_wait_xcnt 0x0
	ds_load_u16 v23, v26
	ds_load_i8 v33, v26 offset:3
	ds_load_i8 v34, v26 offset:4
	ds_load_u16 v35, v26 offset:6
	ds_load_i8 v36, v26 offset:9
	ds_load_i8 v37, v26 offset:10
	ds_load_u16 v41, v26 offset:12
	;; [unrolled: 3-line block ×3, first 2 shown]
	ds_load_i8 v45, v26 offset:21
	ds_load_i8 v46, v26 offset:22
	s_wait_dscnt 0xb
	v_bfe_i32 v47, v23, 0, 8
	v_ashrrev_i16 v23, 8, v23
	s_wait_dscnt 0xa
	v_cvt_f32_i32_e32 v33, v33
	s_wait_dscnt 0x8
	v_bfe_i32 v48, v35, 0, 8
	v_ashrrev_i16 v35, 8, v35
	v_bfe_i32 v47, v47, 0, 16
	v_bfe_i32 v23, v23, 0, 16
	v_cvt_f32_i32_e32 v34, v34
	s_wait_dscnt 0x7
	v_cvt_f32_i32_e32 v36, v36
	s_wait_dscnt 0x5
	v_bfe_i32 v49, v41, 0, 8
	v_cvt_f32_i32_e32 v47, v47
	v_cvt_f32_i32_e32 v23, v23
	;; [unrolled: 1-line block ×3, first 2 shown]
	v_ashrrev_i16 v41, 8, v41
	s_wait_dscnt 0x4
	v_cvt_f32_i32_e32 v42, v42
	s_wait_dscnt 0x2
	v_bfe_i32 v51, v44, 0, 8
	v_cvt_f32_i32_e32 v43, v43
	v_ashrrev_i16 v44, 8, v44
	s_wait_loadcnt 0x7
	v_bfe_i32 v50, v29, 0, 8
	v_ashrrev_i16 v29, 8, v29
	s_delay_alu instid0(VALU_DEP_2) | instskip(NEXT) | instid1(VALU_DEP_2)
	v_bfe_i32 v50, v50, 0, 16
	v_bfe_i32 v29, v29, 0, 16
	s_wait_loadcnt 0x6
	v_bfe_i32 v52, v38, 0, 8
	v_ashrrev_i16 v38, 8, v38
	v_cvt_f32_i32_e32 v50, v50
	v_cvt_f32_i32_e32 v29, v29
	s_delay_alu instid0(VALU_DEP_4) | instskip(NEXT) | instid1(VALU_DEP_4)
	v_bfe_i32 v52, v52, 0, 16
	v_bfe_i32 v38, v38, 0, 16
	s_delay_alu instid0(VALU_DEP_4)
	v_fmac_f32_e32 v28, v47, v50
	v_bfe_i32 v47, v48, 0, 16
	s_wait_loadcnt 0x5
	v_bfe_i32 v48, v39, 0, 8
	v_cvt_f32_i32_e32 v50, v52
	v_cvt_f32_i32_e32 v38, v38
	v_fmac_f32_e32 v28, v23, v29
	v_bfe_i32 v23, v35, 0, 16
	v_ashrrev_i16 v29, 8, v39
	v_bfe_i32 v35, v48, 0, 16
	s_wait_loadcnt 0x4
	v_bfe_i32 v39, v40, 0, 8
	v_fmac_f32_e32 v28, v33, v50
	v_cvt_f32_i32_e32 v33, v47
	v_bfe_i32 v29, v29, 0, 16
	v_cvt_f32_i32_e32 v35, v35
	v_cvt_f32_i32_e32 v23, v23
	v_fmac_f32_e32 v28, v34, v38
	v_ashrrev_i16 v34, 8, v40
	v_bfe_i32 v38, v39, 0, 16
	v_cvt_f32_i32_e32 v29, v29
	s_delay_alu instid0(VALU_DEP_4)
	v_fmac_f32_e32 v28, v33, v35
	s_wait_loadcnt 0x3
	v_bfe_i32 v35, v30, 0, 8
	v_bfe_i32 v34, v34, 0, 16
	v_cvt_f32_i32_e32 v38, v38
	v_bfe_i32 v33, v49, 0, 16
	v_fmac_f32_e32 v28, v23, v29
	v_ashrrev_i16 v29, 8, v30
	v_bfe_i32 v30, v35, 0, 16
	v_cvt_f32_i32_e32 v34, v34
	v_bfe_i32 v23, v41, 0, 16
	v_fmac_f32_e32 v28, v36, v38
	v_cvt_f32_i32_e32 v33, v33
	s_wait_loadcnt 0x2
	v_bfe_i32 v35, v31, 0, 8
	v_bfe_i32 v29, v29, 0, 16
	v_cvt_f32_i32_e32 v30, v30
	v_fmac_f32_e32 v28, v37, v34
	v_cvt_f32_i32_e32 v23, v23
	v_ashrrev_i16 v31, 8, v31
	v_bfe_i32 v34, v35, 0, 16
	v_cvt_f32_i32_e32 v29, v29
	v_fmac_f32_e32 v28, v33, v30
	s_wait_loadcnt 0x1
	v_bfe_i32 v33, v32, 0, 8
	v_bfe_i32 v31, v31, 0, 16
	v_cvt_f32_i32_e32 v34, v34
	v_bfe_i32 v30, v51, 0, 16
	v_fmac_f32_e32 v28, v23, v29
	v_ashrrev_i16 v29, 8, v32
	v_bfe_i32 v32, v33, 0, 16
	v_cvt_f32_i32_e32 v31, v31
	v_bfe_i32 v23, v44, 0, 16
	v_fmac_f32_e32 v28, v42, v34
	v_cvt_f32_i32_e32 v30, v30
	s_wait_loadcnt 0x0
	v_bfe_i32 v33, v22, 0, 8
	v_bfe_i32 v29, v29, 0, 16
	v_cvt_f32_i32_e32 v32, v32
	v_fmac_f32_e32 v28, v43, v31
	v_cvt_f32_i32_e32 v23, v23
	v_bfe_i32 v31, v33, 0, 16
	v_cvt_f32_i32_e32 v29, v29
	v_ashrrev_i16 v22, 8, v22
	v_fmac_f32_e32 v28, v30, v32
	s_wait_dscnt 0x1
	v_cvt_f32_i32_e32 v30, v45
	v_cvt_f32_i32_e32 v31, v31
	v_bfe_i32 v22, v22, 0, 16
	v_fmac_f32_e32 v28, v23, v29
	s_wait_dscnt 0x0
	v_cvt_f32_i32_e32 v23, v46
	s_delay_alu instid0(VALU_DEP_3) | instskip(NEXT) | instid1(VALU_DEP_3)
	v_cvt_f32_i32_e32 v22, v22
	v_fmac_f32_e32 v28, v30, v31
	s_delay_alu instid0(VALU_DEP_1)
	v_fmac_f32_e32 v28, v23, v22
	s_branch .LBB20_10
.LBB20_15:                              ;   in Loop: Header=BB20_8 Depth=1
	s_or_b32 exec_lo, exec_lo, s14
.LBB20_16:                              ;   in Loop: Header=BB20_8 Depth=1
	s_delay_alu instid0(SALU_CYCLE_1)
	s_or_b32 exec_lo, exec_lo, s11
	s_and_saveexec_b32 s11, s0
	s_cbranch_execz .LBB20_7
; %bb.17:                               ;   in Loop: Header=BB20_8 Depth=1
	v_mul_f32_e32 v0, s2, v28
	s_and_b32 vcc_lo, exec_lo, s1
	s_cbranch_vccz .LBB20_23
; %bb.18:                               ;   in Loop: Header=BB20_8 Depth=1
	s_and_b32 vcc_lo, exec_lo, s3
	s_mov_b32 s14, -1
	s_cbranch_vccz .LBB20_20
; %bb.19:                               ;   in Loop: Header=BB20_8 Depth=1
	global_load_b32 v1, v[14:15], off
	s_mov_b32 s14, 0
	s_wait_loadcnt 0x0
	v_fma_f32 v1, s24, v1, v0
	global_store_b32 v[14:15], v1, off
.LBB20_20:                              ;   in Loop: Header=BB20_8 Depth=1
	s_and_not1_b32 vcc_lo, exec_lo, s14
	s_cbranch_vccnz .LBB20_22
; %bb.21:                               ;   in Loop: Header=BB20_8 Depth=1
	global_load_b32 v1, v[16:17], off
	s_wait_loadcnt 0x0
	v_fma_f32 v1, s24, v1, v0
	global_store_b32 v[16:17], v1, off
.LBB20_22:                              ;   in Loop: Header=BB20_8 Depth=1
	s_cbranch_execnz .LBB20_7
	s_branch .LBB20_24
.LBB20_23:                              ;   in Loop: Header=BB20_8 Depth=1
.LBB20_24:                              ;   in Loop: Header=BB20_8 Depth=1
	s_and_b32 vcc_lo, exec_lo, s3
	s_mov_b32 s14, -1
	s_cbranch_vccz .LBB20_26
; %bb.25:                               ;   in Loop: Header=BB20_8 Depth=1
	s_mov_b32 s14, 0
	global_store_b32 v[14:15], v0, off
.LBB20_26:                              ;   in Loop: Header=BB20_8 Depth=1
	s_and_not1_b32 vcc_lo, exec_lo, s14
	s_cbranch_vccnz .LBB20_7
; %bb.27:                               ;   in Loop: Header=BB20_8 Depth=1
	global_store_b32 v[16:17], v0, off
	s_branch .LBB20_7
.LBB20_28:
	s_endpgm
	.section	.rodata,"a",@progbits
	.p2align	6, 0x0
	.amdhsa_kernel _ZN9rocsparseL29bsrmmnn_small_blockdim_kernelILj64ELj8ELj2EllaaffEEv20rocsparse_direction_T3_S2_llNS_24const_host_device_scalarIT7_EEPKT2_PKS2_PKT4_PKT5_llS5_PT6_ll16rocsparse_order_21rocsparse_index_base_b
		.amdhsa_group_segment_fixed_size 704
		.amdhsa_private_segment_fixed_size 0
		.amdhsa_kernarg_size 400
		.amdhsa_user_sgpr_count 2
		.amdhsa_user_sgpr_dispatch_ptr 0
		.amdhsa_user_sgpr_queue_ptr 0
		.amdhsa_user_sgpr_kernarg_segment_ptr 1
		.amdhsa_user_sgpr_dispatch_id 0
		.amdhsa_user_sgpr_kernarg_preload_length 0
		.amdhsa_user_sgpr_kernarg_preload_offset 0
		.amdhsa_user_sgpr_private_segment_size 0
		.amdhsa_wavefront_size32 1
		.amdhsa_uses_dynamic_stack 0
		.amdhsa_enable_private_segment 0
		.amdhsa_system_sgpr_workgroup_id_x 1
		.amdhsa_system_sgpr_workgroup_id_y 1
		.amdhsa_system_sgpr_workgroup_id_z 0
		.amdhsa_system_sgpr_workgroup_info 0
		.amdhsa_system_vgpr_workitem_id 0
		.amdhsa_next_free_vgpr 53
		.amdhsa_next_free_sgpr 28
		.amdhsa_named_barrier_count 0
		.amdhsa_reserve_vcc 1
		.amdhsa_float_round_mode_32 0
		.amdhsa_float_round_mode_16_64 0
		.amdhsa_float_denorm_mode_32 3
		.amdhsa_float_denorm_mode_16_64 3
		.amdhsa_fp16_overflow 0
		.amdhsa_memory_ordered 1
		.amdhsa_forward_progress 1
		.amdhsa_inst_pref_size 17
		.amdhsa_round_robin_scheduling 0
		.amdhsa_exception_fp_ieee_invalid_op 0
		.amdhsa_exception_fp_denorm_src 0
		.amdhsa_exception_fp_ieee_div_zero 0
		.amdhsa_exception_fp_ieee_overflow 0
		.amdhsa_exception_fp_ieee_underflow 0
		.amdhsa_exception_fp_ieee_inexact 0
		.amdhsa_exception_int_div_zero 0
	.end_amdhsa_kernel
	.section	.text._ZN9rocsparseL29bsrmmnn_small_blockdim_kernelILj64ELj8ELj2EllaaffEEv20rocsparse_direction_T3_S2_llNS_24const_host_device_scalarIT7_EEPKT2_PKS2_PKT4_PKT5_llS5_PT6_ll16rocsparse_order_21rocsparse_index_base_b,"axG",@progbits,_ZN9rocsparseL29bsrmmnn_small_blockdim_kernelILj64ELj8ELj2EllaaffEEv20rocsparse_direction_T3_S2_llNS_24const_host_device_scalarIT7_EEPKT2_PKS2_PKT4_PKT5_llS5_PT6_ll16rocsparse_order_21rocsparse_index_base_b,comdat
.Lfunc_end20:
	.size	_ZN9rocsparseL29bsrmmnn_small_blockdim_kernelILj64ELj8ELj2EllaaffEEv20rocsparse_direction_T3_S2_llNS_24const_host_device_scalarIT7_EEPKT2_PKS2_PKT4_PKT5_llS5_PT6_ll16rocsparse_order_21rocsparse_index_base_b, .Lfunc_end20-_ZN9rocsparseL29bsrmmnn_small_blockdim_kernelILj64ELj8ELj2EllaaffEEv20rocsparse_direction_T3_S2_llNS_24const_host_device_scalarIT7_EEPKT2_PKS2_PKT4_PKT5_llS5_PT6_ll16rocsparse_order_21rocsparse_index_base_b
                                        ; -- End function
	.set _ZN9rocsparseL29bsrmmnn_small_blockdim_kernelILj64ELj8ELj2EllaaffEEv20rocsparse_direction_T3_S2_llNS_24const_host_device_scalarIT7_EEPKT2_PKS2_PKT4_PKT5_llS5_PT6_ll16rocsparse_order_21rocsparse_index_base_b.num_vgpr, 53
	.set _ZN9rocsparseL29bsrmmnn_small_blockdim_kernelILj64ELj8ELj2EllaaffEEv20rocsparse_direction_T3_S2_llNS_24const_host_device_scalarIT7_EEPKT2_PKS2_PKT4_PKT5_llS5_PT6_ll16rocsparse_order_21rocsparse_index_base_b.num_agpr, 0
	.set _ZN9rocsparseL29bsrmmnn_small_blockdim_kernelILj64ELj8ELj2EllaaffEEv20rocsparse_direction_T3_S2_llNS_24const_host_device_scalarIT7_EEPKT2_PKS2_PKT4_PKT5_llS5_PT6_ll16rocsparse_order_21rocsparse_index_base_b.numbered_sgpr, 28
	.set _ZN9rocsparseL29bsrmmnn_small_blockdim_kernelILj64ELj8ELj2EllaaffEEv20rocsparse_direction_T3_S2_llNS_24const_host_device_scalarIT7_EEPKT2_PKS2_PKT4_PKT5_llS5_PT6_ll16rocsparse_order_21rocsparse_index_base_b.num_named_barrier, 0
	.set _ZN9rocsparseL29bsrmmnn_small_blockdim_kernelILj64ELj8ELj2EllaaffEEv20rocsparse_direction_T3_S2_llNS_24const_host_device_scalarIT7_EEPKT2_PKS2_PKT4_PKT5_llS5_PT6_ll16rocsparse_order_21rocsparse_index_base_b.private_seg_size, 0
	.set _ZN9rocsparseL29bsrmmnn_small_blockdim_kernelILj64ELj8ELj2EllaaffEEv20rocsparse_direction_T3_S2_llNS_24const_host_device_scalarIT7_EEPKT2_PKS2_PKT4_PKT5_llS5_PT6_ll16rocsparse_order_21rocsparse_index_base_b.uses_vcc, 1
	.set _ZN9rocsparseL29bsrmmnn_small_blockdim_kernelILj64ELj8ELj2EllaaffEEv20rocsparse_direction_T3_S2_llNS_24const_host_device_scalarIT7_EEPKT2_PKS2_PKT4_PKT5_llS5_PT6_ll16rocsparse_order_21rocsparse_index_base_b.uses_flat_scratch, 0
	.set _ZN9rocsparseL29bsrmmnn_small_blockdim_kernelILj64ELj8ELj2EllaaffEEv20rocsparse_direction_T3_S2_llNS_24const_host_device_scalarIT7_EEPKT2_PKS2_PKT4_PKT5_llS5_PT6_ll16rocsparse_order_21rocsparse_index_base_b.has_dyn_sized_stack, 0
	.set _ZN9rocsparseL29bsrmmnn_small_blockdim_kernelILj64ELj8ELj2EllaaffEEv20rocsparse_direction_T3_S2_llNS_24const_host_device_scalarIT7_EEPKT2_PKS2_PKT4_PKT5_llS5_PT6_ll16rocsparse_order_21rocsparse_index_base_b.has_recursion, 0
	.set _ZN9rocsparseL29bsrmmnn_small_blockdim_kernelILj64ELj8ELj2EllaaffEEv20rocsparse_direction_T3_S2_llNS_24const_host_device_scalarIT7_EEPKT2_PKS2_PKT4_PKT5_llS5_PT6_ll16rocsparse_order_21rocsparse_index_base_b.has_indirect_call, 0
	.section	.AMDGPU.csdata,"",@progbits
; Kernel info:
; codeLenInByte = 2056
; TotalNumSgprs: 30
; NumVgprs: 53
; ScratchSize: 0
; MemoryBound: 0
; FloatMode: 240
; IeeeMode: 1
; LDSByteSize: 704 bytes/workgroup (compile time only)
; SGPRBlocks: 0
; VGPRBlocks: 3
; NumSGPRsForWavesPerEU: 30
; NumVGPRsForWavesPerEU: 53
; NamedBarCnt: 0
; Occupancy: 16
; WaveLimiterHint : 1
; COMPUTE_PGM_RSRC2:SCRATCH_EN: 0
; COMPUTE_PGM_RSRC2:USER_SGPR: 2
; COMPUTE_PGM_RSRC2:TRAP_HANDLER: 0
; COMPUTE_PGM_RSRC2:TGID_X_EN: 1
; COMPUTE_PGM_RSRC2:TGID_Y_EN: 1
; COMPUTE_PGM_RSRC2:TGID_Z_EN: 0
; COMPUTE_PGM_RSRC2:TIDIG_COMP_CNT: 0
	.section	.text._ZN9rocsparseL29bsrmmnt_small_blockdim_kernelILj64ELj8ELj2EiiffffEEv20rocsparse_direction_T3_S2_llNS_24const_host_device_scalarIT7_EEPKT2_PKS2_PKT4_PKT5_llS5_PT6_ll16rocsparse_order_21rocsparse_index_base_b,"axG",@progbits,_ZN9rocsparseL29bsrmmnt_small_blockdim_kernelILj64ELj8ELj2EiiffffEEv20rocsparse_direction_T3_S2_llNS_24const_host_device_scalarIT7_EEPKT2_PKS2_PKT4_PKT5_llS5_PT6_ll16rocsparse_order_21rocsparse_index_base_b,comdat
	.globl	_ZN9rocsparseL29bsrmmnt_small_blockdim_kernelILj64ELj8ELj2EiiffffEEv20rocsparse_direction_T3_S2_llNS_24const_host_device_scalarIT7_EEPKT2_PKS2_PKT4_PKT5_llS5_PT6_ll16rocsparse_order_21rocsparse_index_base_b ; -- Begin function _ZN9rocsparseL29bsrmmnt_small_blockdim_kernelILj64ELj8ELj2EiiffffEEv20rocsparse_direction_T3_S2_llNS_24const_host_device_scalarIT7_EEPKT2_PKS2_PKT4_PKT5_llS5_PT6_ll16rocsparse_order_21rocsparse_index_base_b
	.p2align	8
	.type	_ZN9rocsparseL29bsrmmnt_small_blockdim_kernelILj64ELj8ELj2EiiffffEEv20rocsparse_direction_T3_S2_llNS_24const_host_device_scalarIT7_EEPKT2_PKS2_PKT4_PKT5_llS5_PT6_ll16rocsparse_order_21rocsparse_index_base_b,@function
_ZN9rocsparseL29bsrmmnt_small_blockdim_kernelILj64ELj8ELj2EiiffffEEv20rocsparse_direction_T3_S2_llNS_24const_host_device_scalarIT7_EEPKT2_PKS2_PKT4_PKT5_llS5_PT6_ll16rocsparse_order_21rocsparse_index_base_b: ; @_ZN9rocsparseL29bsrmmnt_small_blockdim_kernelILj64ELj8ELj2EiiffffEEv20rocsparse_direction_T3_S2_llNS_24const_host_device_scalarIT7_EEPKT2_PKS2_PKT4_PKT5_llS5_PT6_ll16rocsparse_order_21rocsparse_index_base_b
; %bb.0:
	s_clause 0x2
	s_load_b96 s[16:18], s[0:1], 0x78
	s_load_b64 s[2:3], s[0:1], 0x20
	s_load_b64 s[24:25], s[0:1], 0x58
	s_wait_kmcnt 0x0
	s_bitcmp1_b32 s18, 0
	s_cselect_b32 s4, -1, 0
	s_delay_alu instid0(SALU_CYCLE_1)
	s_and_b32 vcc_lo, exec_lo, s4
	s_xor_b32 s4, s4, -1
	s_cbranch_vccnz .LBB21_2
; %bb.1:
	s_load_b32 s2, s[2:3], 0x0
.LBB21_2:
	s_and_not1_b32 vcc_lo, exec_lo, s4
	s_cbranch_vccnz .LBB21_4
; %bb.3:
	s_load_b32 s24, s[24:25], 0x0
.LBB21_4:
	s_wait_kmcnt 0x0
	s_cmp_eq_f32 s2, 0
	s_cselect_b32 s3, -1, 0
	s_cmp_eq_f32 s24, 1.0
	s_cselect_b32 s4, -1, 0
	s_delay_alu instid0(SALU_CYCLE_1) | instskip(NEXT) | instid1(SALU_CYCLE_1)
	s_and_b32 s3, s3, s4
	s_and_b32 vcc_lo, exec_lo, s3
	s_cbranch_vccnz .LBB21_30
; %bb.5:
	s_clause 0x1
	s_load_b32 s3, s[0:1], 0x94
	s_load_b96 s[20:22], s[0:1], 0x0
	s_bfe_u32 s4, ttmp6, 0x4000c
	s_and_b32 s5, ttmp6, 15
	s_add_co_i32 s4, s4, 1
	s_getreg_b32 s6, hwreg(HW_REG_IB_STS2, 6, 4)
	s_mul_i32 s4, ttmp9, s4
	s_delay_alu instid0(SALU_CYCLE_1) | instskip(SKIP_4) | instid1(SALU_CYCLE_1)
	s_add_co_i32 s5, s5, s4
	s_wait_kmcnt 0x0
	s_and_b32 s3, s3, 0xffff
	s_cmp_eq_u32 s6, 0
	s_cselect_b32 s4, ttmp9, s5
	v_mad_u32 v1, s4, s3, v0
	s_mov_b32 s3, exec_lo
	s_delay_alu instid0(VALU_DEP_1) | instskip(NEXT) | instid1(VALU_DEP_1)
	v_lshrrev_b32_e32 v2, 4, v1
	v_cmpx_gt_i32_e64 s21, v2
	s_cbranch_execz .LBB21_30
; %bb.6:
	s_cmp_lt_i32 s22, 1
	s_cbranch_scc1 .LBB21_30
; %bb.7:
	s_load_b256 s[4:11], s[0:1], 0x28
	v_dual_mov_b32 v3, 0 :: v_dual_lshlrev_b32 v2, 2, v2
	s_load_b128 s[12:15], s[0:1], 0x60
	s_cmp_eq_u32 s20, 0
	v_lshrrev_b32_e32 v10, 3, v0
	s_cselect_b32 vcc_lo, -1, 0
	s_cmp_neq_f32 s24, 0
	s_delay_alu instid0(VALU_DEP_1)
	v_lshl_or_b32 v9, v10, 5, 0x300
	v_mul_u32_u24_e32 v10, 0x60, v10
	s_cselect_b32 s3, -1, 0
	s_cmp_lg_u32 s16, 1
	s_wait_kmcnt 0x0
	global_load_b64 v[4:5], v2, s[4:5]
	s_wait_xcnt 0x0
	v_lshrrev_b32_e32 v2, 3, v1
	s_load_b64 s[4:5], s[0:1], 0x48
	v_bfe_u32 v1, v1, 3, 1
	v_and_b32_e32 v8, 7, v0
	s_delay_alu instid0(VALU_DEP_3) | instskip(NEXT) | instid1(VALU_DEP_3)
	v_mul_u64_e32 v[6:7], s[14:15], v[2:3]
	v_dual_lshlrev_b32 v2, 2, v2 :: v_dual_bitop2_b32 v0, 2, v1 bitop3:0x54
	v_lshlrev_b32_e32 v12, 1, v1
	s_delay_alu instid0(VALU_DEP_4) | instskip(SKIP_1) | instid1(VALU_DEP_3)
	v_mul_u32_u24_e32 v16, 12, v8
	v_lshl_or_b32 v11, v8, 2, v9
	v_dual_cndmask_b32 v12, v1, v12, vcc_lo :: v_dual_bitop2_b32 v13, 1, v12 bitop3:0x54
	s_delay_alu instid0(VALU_DEP_1)
	v_dual_cndmask_b32 v13, v0, v13 :: v_dual_add_nc_u32 v16, v10, v16
	v_add_nc_u64_e32 v[0:1], s[12:13], v[2:3]
	v_lshl_add_u64 v[2:3], v[6:7], 2, s[12:13]
	s_mov_b32 s12, 0
	s_cselect_b32 s13, -1, 0
	s_wait_loadcnt 0x0
	v_subrev_nc_u32_e32 v14, s17, v4
	v_subrev_nc_u32_e32 v15, s17, v5
	s_wait_xcnt 0x0
	v_cmp_lt_i32_e64 s0, v4, v5
	s_branch .LBB21_9
.LBB21_8:                               ;   in Loop: Header=BB21_9 Depth=1
	s_wait_xcnt 0x0
	s_or_b32 exec_lo, exec_lo, s1
	s_add_co_i32 s12, s12, 8
	s_delay_alu instid0(SALU_CYCLE_1)
	s_cmp_lt_i32 s12, s22
	s_cbranch_scc0 .LBB21_30
.LBB21_9:                               ; =>This Loop Header: Depth=1
                                        ;     Child Loop BB21_12 Depth 2
                                        ;       Child Loop BB21_16 Depth 3
	v_dual_mov_b32 v17, 0 :: v_dual_bitop2_b32 v4, s12, v8 bitop3:0x54
	s_delay_alu instid0(VALU_DEP_1) | instskip(NEXT) | instid1(VALU_DEP_3)
	v_ashrrev_i32_e32 v5, 31, v4
	s_and_saveexec_b32 s16, s0
	s_cbranch_execz .LBB21_18
; %bb.10:                               ;   in Loop: Header=BB21_9 Depth=1
	s_delay_alu instid0(VALU_DEP_1)
	v_lshl_add_u64 v[6:7], v[4:5], 2, s[10:11]
	v_dual_mov_b32 v17, 0 :: v_dual_mov_b32 v18, v14
	s_mov_b32 s18, 0
	v_cmp_gt_i32_e32 vcc_lo, s22, v4
	s_branch .LBB21_12
.LBB21_11:                              ;   in Loop: Header=BB21_12 Depth=2
	s_or_b32 exec_lo, exec_lo, s1
	v_add_nc_u32_e32 v18, 8, v18
	s_delay_alu instid0(VALU_DEP_1) | instskip(SKIP_1) | instid1(SALU_CYCLE_1)
	v_cmp_ge_i32_e64 s1, v18, v15
	s_or_b32 s18, s1, s18
	s_and_not1_b32 exec_lo, exec_lo, s18
	s_cbranch_execz .LBB21_17
.LBB21_12:                              ;   Parent Loop BB21_9 Depth=1
                                        ; =>  This Loop Header: Depth=2
                                        ;       Child Loop BB21_16 Depth 3
	s_delay_alu instid0(VALU_DEP_2) | instskip(SKIP_2) | instid1(VALU_DEP_2)
	v_dual_mov_b32 v21, 0 :: v_dual_add_nc_u32 v22, v18, v8
	v_dual_mov_b32 v19, 0 :: v_dual_mov_b32 v20, 0
	s_mov_b32 s19, exec_lo
	v_cmpx_lt_i32_e64 v22, v15
	s_cbranch_execz .LBB21_14
; %bb.13:                               ;   in Loop: Header=BB21_12 Depth=2
	global_load_b32 v21, v22, s[6:7] scale_offset
	s_wait_loadcnt 0x0
	v_subrev_nc_u32_e32 v21, s17, v21
	s_delay_alu instid0(VALU_DEP_1) | instskip(SKIP_1) | instid1(VALU_DEP_1)
	v_dual_lshlrev_b32 v19, 2, v22 :: v_dual_lshlrev_b32 v21, 1, v21
	s_wait_xcnt 0x0
	v_or_b32_e32 v22, v19, v12
	v_or_b32_e32 v23, v19, v13
	s_clause 0x1
	global_load_b32 v19, v22, s[8:9] scale_offset
	global_load_b32 v20, v23, s[8:9] scale_offset
.LBB21_14:                              ;   in Loop: Header=BB21_12 Depth=2
	s_wait_xcnt 0x0
	s_or_b32 exec_lo, exec_lo, s19
	ds_store_b32 v11, v21
	s_wait_loadcnt 0x0
	ds_store_2addr_b32 v16, v19, v20 offset1:1
	s_wait_dscnt 0x0
	s_barrier_signal -1
	s_barrier_wait -1
	s_and_saveexec_b32 s1, vcc_lo
	s_cbranch_execz .LBB21_11
; %bb.15:                               ;   in Loop: Header=BB21_12 Depth=2
	v_mov_b32_e32 v19, v10
	s_mov_b32 s19, 0
.LBB21_16:                              ;   Parent Loop BB21_9 Depth=1
                                        ;     Parent Loop BB21_12 Depth=2
                                        ; =>    This Inner Loop Header: Depth=3
	s_delay_alu instid0(SALU_CYCLE_1) | instskip(SKIP_1) | instid1(SALU_CYCLE_1)
	v_add_nc_u32_e32 v20, s19, v9
	s_add_co_i32 s19, s19, 8
	s_cmp_lg_u32 s19, 32
	ds_load_b64 v[20:21], v20
	s_wait_dscnt 0x0
	v_dual_mov_b32 v22, v20 :: v_dual_ashrrev_i32 v23, 31, v20
	v_dual_add_nc_u32 v24, 1, v20 :: v_dual_ashrrev_i32 v27, 31, v21
	v_dual_mov_b32 v26, v21 :: v_dual_add_nc_u32 v20, 1, v21
	s_wait_kmcnt 0x0
	s_delay_alu instid0(VALU_DEP_3) | instskip(NEXT) | instid1(VALU_DEP_3)
	v_mul_u64_e32 v[22:23], s[4:5], v[22:23]
	v_ashrrev_i32_e32 v25, 31, v24
	s_delay_alu instid0(VALU_DEP_3) | instskip(SKIP_1) | instid1(VALU_DEP_3)
	v_mul_u64_e32 v[26:27], s[4:5], v[26:27]
	v_ashrrev_i32_e32 v21, 31, v20
	v_mul_u64_e32 v[24:25], s[4:5], v[24:25]
	s_delay_alu instid0(VALU_DEP_2)
	v_mul_u64_e32 v[20:21], s[4:5], v[20:21]
	v_lshl_add_u64 v[22:23], v[22:23], 2, v[6:7]
	global_load_b32 v28, v[22:23], off
	s_wait_xcnt 0x0
	v_lshl_add_u64 v[22:23], v[24:25], 2, v[6:7]
	v_lshl_add_u64 v[24:25], v[26:27], 2, v[6:7]
	;; [unrolled: 1-line block ×3, first 2 shown]
	s_clause 0x2
	global_load_b32 v26, v[22:23], off
	global_load_b32 v27, v[24:25], off
	;; [unrolled: 1-line block ×3, first 2 shown]
	s_wait_xcnt 0x0
	ds_load_b64 v[20:21], v19
	ds_load_2addr_b32 v[22:23], v19 offset0:3 offset1:4
	s_wait_loadcnt_dscnt 0x301
	v_dual_add_nc_u32 v19, 24, v19 :: v_dual_fmac_f32 v17, v20, v28
	s_wait_loadcnt 0x2
	s_delay_alu instid0(VALU_DEP_1) | instskip(SKIP_1) | instid1(VALU_DEP_1)
	v_fmac_f32_e32 v17, v21, v26
	s_wait_loadcnt_dscnt 0x100
	v_fmac_f32_e32 v17, v22, v27
	s_wait_loadcnt 0x0
	s_delay_alu instid0(VALU_DEP_1)
	v_fmac_f32_e32 v17, v23, v29
	s_cbranch_scc1 .LBB21_16
	s_branch .LBB21_11
.LBB21_17:                              ;   in Loop: Header=BB21_9 Depth=1
	s_or_b32 exec_lo, exec_lo, s18
.LBB21_18:                              ;   in Loop: Header=BB21_9 Depth=1
	s_delay_alu instid0(SALU_CYCLE_1) | instskip(NEXT) | instid1(SALU_CYCLE_1)
	s_or_b32 exec_lo, exec_lo, s16
	s_mov_b32 s1, exec_lo
	v_cmpx_gt_i32_e64 s22, v4
	s_cbranch_execz .LBB21_8
; %bb.19:                               ;   in Loop: Header=BB21_9 Depth=1
	s_and_b32 vcc_lo, exec_lo, s3
	s_cbranch_vccz .LBB21_25
; %bb.20:                               ;   in Loop: Header=BB21_9 Depth=1
	s_and_b32 vcc_lo, exec_lo, s13
	s_mov_b32 s16, -1
	s_cbranch_vccz .LBB21_22
; %bb.21:                               ;   in Loop: Header=BB21_9 Depth=1
	v_lshl_add_u64 v[6:7], v[4:5], 2, v[2:3]
	v_mul_f32_e32 v19, s2, v17
	s_mov_b32 s16, 0
	global_load_b32 v18, v[6:7], off
	s_wait_loadcnt 0x0
	v_fmac_f32_e32 v19, s24, v18
	global_store_b32 v[6:7], v19, off
.LBB21_22:                              ;   in Loop: Header=BB21_9 Depth=1
	s_and_not1_b32 vcc_lo, exec_lo, s16
	s_cbranch_vccnz .LBB21_24
; %bb.23:                               ;   in Loop: Header=BB21_9 Depth=1
	s_wait_xcnt 0x0
	v_mul_u64_e32 v[6:7], s[14:15], v[4:5]
	v_mul_f32_e32 v19, s2, v17
	s_delay_alu instid0(VALU_DEP_2)
	v_lshl_add_u64 v[6:7], v[6:7], 2, v[0:1]
	global_load_b32 v18, v[6:7], off
	s_wait_loadcnt 0x0
	v_fmac_f32_e32 v19, s24, v18
	global_store_b32 v[6:7], v19, off
.LBB21_24:                              ;   in Loop: Header=BB21_9 Depth=1
	s_cbranch_execnz .LBB21_8
	s_branch .LBB21_26
.LBB21_25:                              ;   in Loop: Header=BB21_9 Depth=1
.LBB21_26:                              ;   in Loop: Header=BB21_9 Depth=1
	s_wait_xcnt 0x0
	v_mul_f32_e32 v6, s2, v17
	s_and_b32 vcc_lo, exec_lo, s13
	s_mov_b32 s16, -1
	s_cbranch_vccz .LBB21_28
; %bb.27:                               ;   in Loop: Header=BB21_9 Depth=1
	v_lshl_add_u64 v[18:19], v[4:5], 2, v[2:3]
	s_mov_b32 s16, 0
	global_store_b32 v[18:19], v6, off
.LBB21_28:                              ;   in Loop: Header=BB21_9 Depth=1
	s_and_not1_b32 vcc_lo, exec_lo, s16
	s_cbranch_vccnz .LBB21_8
; %bb.29:                               ;   in Loop: Header=BB21_9 Depth=1
	v_mul_u64_e32 v[4:5], s[14:15], v[4:5]
	s_delay_alu instid0(VALU_DEP_1)
	v_lshl_add_u64 v[4:5], v[4:5], 2, v[0:1]
	global_store_b32 v[4:5], v6, off
	s_branch .LBB21_8
.LBB21_30:
	s_endpgm
	.section	.rodata,"a",@progbits
	.p2align	6, 0x0
	.amdhsa_kernel _ZN9rocsparseL29bsrmmnt_small_blockdim_kernelILj64ELj8ELj2EiiffffEEv20rocsparse_direction_T3_S2_llNS_24const_host_device_scalarIT7_EEPKT2_PKS2_PKT4_PKT5_llS5_PT6_ll16rocsparse_order_21rocsparse_index_base_b
		.amdhsa_group_segment_fixed_size 1024
		.amdhsa_private_segment_fixed_size 0
		.amdhsa_kernarg_size 392
		.amdhsa_user_sgpr_count 2
		.amdhsa_user_sgpr_dispatch_ptr 0
		.amdhsa_user_sgpr_queue_ptr 0
		.amdhsa_user_sgpr_kernarg_segment_ptr 1
		.amdhsa_user_sgpr_dispatch_id 0
		.amdhsa_user_sgpr_kernarg_preload_length 0
		.amdhsa_user_sgpr_kernarg_preload_offset 0
		.amdhsa_user_sgpr_private_segment_size 0
		.amdhsa_wavefront_size32 1
		.amdhsa_uses_dynamic_stack 0
		.amdhsa_enable_private_segment 0
		.amdhsa_system_sgpr_workgroup_id_x 1
		.amdhsa_system_sgpr_workgroup_id_y 0
		.amdhsa_system_sgpr_workgroup_id_z 0
		.amdhsa_system_sgpr_workgroup_info 0
		.amdhsa_system_vgpr_workitem_id 0
		.amdhsa_next_free_vgpr 30
		.amdhsa_next_free_sgpr 26
		.amdhsa_named_barrier_count 0
		.amdhsa_reserve_vcc 1
		.amdhsa_float_round_mode_32 0
		.amdhsa_float_round_mode_16_64 0
		.amdhsa_float_denorm_mode_32 3
		.amdhsa_float_denorm_mode_16_64 3
		.amdhsa_fp16_overflow 0
		.amdhsa_memory_ordered 1
		.amdhsa_forward_progress 1
		.amdhsa_inst_pref_size 10
		.amdhsa_round_robin_scheduling 0
		.amdhsa_exception_fp_ieee_invalid_op 0
		.amdhsa_exception_fp_denorm_src 0
		.amdhsa_exception_fp_ieee_div_zero 0
		.amdhsa_exception_fp_ieee_overflow 0
		.amdhsa_exception_fp_ieee_underflow 0
		.amdhsa_exception_fp_ieee_inexact 0
		.amdhsa_exception_int_div_zero 0
	.end_amdhsa_kernel
	.section	.text._ZN9rocsparseL29bsrmmnt_small_blockdim_kernelILj64ELj8ELj2EiiffffEEv20rocsparse_direction_T3_S2_llNS_24const_host_device_scalarIT7_EEPKT2_PKS2_PKT4_PKT5_llS5_PT6_ll16rocsparse_order_21rocsparse_index_base_b,"axG",@progbits,_ZN9rocsparseL29bsrmmnt_small_blockdim_kernelILj64ELj8ELj2EiiffffEEv20rocsparse_direction_T3_S2_llNS_24const_host_device_scalarIT7_EEPKT2_PKS2_PKT4_PKT5_llS5_PT6_ll16rocsparse_order_21rocsparse_index_base_b,comdat
.Lfunc_end21:
	.size	_ZN9rocsparseL29bsrmmnt_small_blockdim_kernelILj64ELj8ELj2EiiffffEEv20rocsparse_direction_T3_S2_llNS_24const_host_device_scalarIT7_EEPKT2_PKS2_PKT4_PKT5_llS5_PT6_ll16rocsparse_order_21rocsparse_index_base_b, .Lfunc_end21-_ZN9rocsparseL29bsrmmnt_small_blockdim_kernelILj64ELj8ELj2EiiffffEEv20rocsparse_direction_T3_S2_llNS_24const_host_device_scalarIT7_EEPKT2_PKS2_PKT4_PKT5_llS5_PT6_ll16rocsparse_order_21rocsparse_index_base_b
                                        ; -- End function
	.set _ZN9rocsparseL29bsrmmnt_small_blockdim_kernelILj64ELj8ELj2EiiffffEEv20rocsparse_direction_T3_S2_llNS_24const_host_device_scalarIT7_EEPKT2_PKS2_PKT4_PKT5_llS5_PT6_ll16rocsparse_order_21rocsparse_index_base_b.num_vgpr, 30
	.set _ZN9rocsparseL29bsrmmnt_small_blockdim_kernelILj64ELj8ELj2EiiffffEEv20rocsparse_direction_T3_S2_llNS_24const_host_device_scalarIT7_EEPKT2_PKS2_PKT4_PKT5_llS5_PT6_ll16rocsparse_order_21rocsparse_index_base_b.num_agpr, 0
	.set _ZN9rocsparseL29bsrmmnt_small_blockdim_kernelILj64ELj8ELj2EiiffffEEv20rocsparse_direction_T3_S2_llNS_24const_host_device_scalarIT7_EEPKT2_PKS2_PKT4_PKT5_llS5_PT6_ll16rocsparse_order_21rocsparse_index_base_b.numbered_sgpr, 26
	.set _ZN9rocsparseL29bsrmmnt_small_blockdim_kernelILj64ELj8ELj2EiiffffEEv20rocsparse_direction_T3_S2_llNS_24const_host_device_scalarIT7_EEPKT2_PKS2_PKT4_PKT5_llS5_PT6_ll16rocsparse_order_21rocsparse_index_base_b.num_named_barrier, 0
	.set _ZN9rocsparseL29bsrmmnt_small_blockdim_kernelILj64ELj8ELj2EiiffffEEv20rocsparse_direction_T3_S2_llNS_24const_host_device_scalarIT7_EEPKT2_PKS2_PKT4_PKT5_llS5_PT6_ll16rocsparse_order_21rocsparse_index_base_b.private_seg_size, 0
	.set _ZN9rocsparseL29bsrmmnt_small_blockdim_kernelILj64ELj8ELj2EiiffffEEv20rocsparse_direction_T3_S2_llNS_24const_host_device_scalarIT7_EEPKT2_PKS2_PKT4_PKT5_llS5_PT6_ll16rocsparse_order_21rocsparse_index_base_b.uses_vcc, 1
	.set _ZN9rocsparseL29bsrmmnt_small_blockdim_kernelILj64ELj8ELj2EiiffffEEv20rocsparse_direction_T3_S2_llNS_24const_host_device_scalarIT7_EEPKT2_PKS2_PKT4_PKT5_llS5_PT6_ll16rocsparse_order_21rocsparse_index_base_b.uses_flat_scratch, 0
	.set _ZN9rocsparseL29bsrmmnt_small_blockdim_kernelILj64ELj8ELj2EiiffffEEv20rocsparse_direction_T3_S2_llNS_24const_host_device_scalarIT7_EEPKT2_PKS2_PKT4_PKT5_llS5_PT6_ll16rocsparse_order_21rocsparse_index_base_b.has_dyn_sized_stack, 0
	.set _ZN9rocsparseL29bsrmmnt_small_blockdim_kernelILj64ELj8ELj2EiiffffEEv20rocsparse_direction_T3_S2_llNS_24const_host_device_scalarIT7_EEPKT2_PKS2_PKT4_PKT5_llS5_PT6_ll16rocsparse_order_21rocsparse_index_base_b.has_recursion, 0
	.set _ZN9rocsparseL29bsrmmnt_small_blockdim_kernelILj64ELj8ELj2EiiffffEEv20rocsparse_direction_T3_S2_llNS_24const_host_device_scalarIT7_EEPKT2_PKS2_PKT4_PKT5_llS5_PT6_ll16rocsparse_order_21rocsparse_index_base_b.has_indirect_call, 0
	.section	.AMDGPU.csdata,"",@progbits
; Kernel info:
; codeLenInByte = 1260
; TotalNumSgprs: 28
; NumVgprs: 30
; ScratchSize: 0
; MemoryBound: 0
; FloatMode: 240
; IeeeMode: 1
; LDSByteSize: 1024 bytes/workgroup (compile time only)
; SGPRBlocks: 0
; VGPRBlocks: 1
; NumSGPRsForWavesPerEU: 28
; NumVGPRsForWavesPerEU: 30
; NamedBarCnt: 0
; Occupancy: 16
; WaveLimiterHint : 0
; COMPUTE_PGM_RSRC2:SCRATCH_EN: 0
; COMPUTE_PGM_RSRC2:USER_SGPR: 2
; COMPUTE_PGM_RSRC2:TRAP_HANDLER: 0
; COMPUTE_PGM_RSRC2:TGID_X_EN: 1
; COMPUTE_PGM_RSRC2:TGID_Y_EN: 0
; COMPUTE_PGM_RSRC2:TGID_Z_EN: 0
; COMPUTE_PGM_RSRC2:TIDIG_COMP_CNT: 0
	.section	.text._ZN9rocsparseL29bsrmmnt_small_blockdim_kernelILj64ELj16ELj2EiiffffEEv20rocsparse_direction_T3_S2_llNS_24const_host_device_scalarIT7_EEPKT2_PKS2_PKT4_PKT5_llS5_PT6_ll16rocsparse_order_21rocsparse_index_base_b,"axG",@progbits,_ZN9rocsparseL29bsrmmnt_small_blockdim_kernelILj64ELj16ELj2EiiffffEEv20rocsparse_direction_T3_S2_llNS_24const_host_device_scalarIT7_EEPKT2_PKS2_PKT4_PKT5_llS5_PT6_ll16rocsparse_order_21rocsparse_index_base_b,comdat
	.globl	_ZN9rocsparseL29bsrmmnt_small_blockdim_kernelILj64ELj16ELj2EiiffffEEv20rocsparse_direction_T3_S2_llNS_24const_host_device_scalarIT7_EEPKT2_PKS2_PKT4_PKT5_llS5_PT6_ll16rocsparse_order_21rocsparse_index_base_b ; -- Begin function _ZN9rocsparseL29bsrmmnt_small_blockdim_kernelILj64ELj16ELj2EiiffffEEv20rocsparse_direction_T3_S2_llNS_24const_host_device_scalarIT7_EEPKT2_PKS2_PKT4_PKT5_llS5_PT6_ll16rocsparse_order_21rocsparse_index_base_b
	.p2align	8
	.type	_ZN9rocsparseL29bsrmmnt_small_blockdim_kernelILj64ELj16ELj2EiiffffEEv20rocsparse_direction_T3_S2_llNS_24const_host_device_scalarIT7_EEPKT2_PKS2_PKT4_PKT5_llS5_PT6_ll16rocsparse_order_21rocsparse_index_base_b,@function
_ZN9rocsparseL29bsrmmnt_small_blockdim_kernelILj64ELj16ELj2EiiffffEEv20rocsparse_direction_T3_S2_llNS_24const_host_device_scalarIT7_EEPKT2_PKS2_PKT4_PKT5_llS5_PT6_ll16rocsparse_order_21rocsparse_index_base_b: ; @_ZN9rocsparseL29bsrmmnt_small_blockdim_kernelILj64ELj16ELj2EiiffffEEv20rocsparse_direction_T3_S2_llNS_24const_host_device_scalarIT7_EEPKT2_PKS2_PKT4_PKT5_llS5_PT6_ll16rocsparse_order_21rocsparse_index_base_b
; %bb.0:
	s_clause 0x2
	s_load_b96 s[16:18], s[0:1], 0x78
	s_load_b64 s[2:3], s[0:1], 0x20
	s_load_b64 s[24:25], s[0:1], 0x58
	s_wait_kmcnt 0x0
	s_bitcmp1_b32 s18, 0
	s_cselect_b32 s4, -1, 0
	s_delay_alu instid0(SALU_CYCLE_1)
	s_and_b32 vcc_lo, exec_lo, s4
	s_xor_b32 s4, s4, -1
	s_cbranch_vccnz .LBB22_2
; %bb.1:
	s_load_b32 s2, s[2:3], 0x0
.LBB22_2:
	s_and_not1_b32 vcc_lo, exec_lo, s4
	s_cbranch_vccnz .LBB22_4
; %bb.3:
	s_load_b32 s24, s[24:25], 0x0
.LBB22_4:
	s_wait_kmcnt 0x0
	s_cmp_eq_f32 s2, 0
	s_cselect_b32 s3, -1, 0
	s_cmp_eq_f32 s24, 1.0
	s_cselect_b32 s4, -1, 0
	s_delay_alu instid0(SALU_CYCLE_1) | instskip(NEXT) | instid1(SALU_CYCLE_1)
	s_and_b32 s3, s3, s4
	s_and_b32 vcc_lo, exec_lo, s3
	s_cbranch_vccnz .LBB22_30
; %bb.5:
	s_clause 0x1
	s_load_b32 s3, s[0:1], 0x94
	s_load_b96 s[20:22], s[0:1], 0x0
	s_bfe_u32 s4, ttmp6, 0x4000c
	s_and_b32 s5, ttmp6, 15
	s_add_co_i32 s4, s4, 1
	s_getreg_b32 s6, hwreg(HW_REG_IB_STS2, 6, 4)
	s_mul_i32 s4, ttmp9, s4
	s_delay_alu instid0(SALU_CYCLE_1) | instskip(SKIP_4) | instid1(SALU_CYCLE_1)
	s_add_co_i32 s5, s5, s4
	s_wait_kmcnt 0x0
	s_and_b32 s3, s3, 0xffff
	s_cmp_eq_u32 s6, 0
	s_cselect_b32 s4, ttmp9, s5
	v_mad_u32 v1, s4, s3, v0
	s_mov_b32 s3, exec_lo
	s_delay_alu instid0(VALU_DEP_1) | instskip(NEXT) | instid1(VALU_DEP_1)
	v_lshrrev_b32_e32 v2, 5, v1
	v_cmpx_gt_i32_e64 s21, v2
	s_cbranch_execz .LBB22_30
; %bb.6:
	s_cmp_lt_i32 s22, 1
	s_cbranch_scc1 .LBB22_30
; %bb.7:
	s_load_b256 s[4:11], s[0:1], 0x28
	v_dual_mov_b32 v3, 0 :: v_dual_lshlrev_b32 v2, 2, v2
	s_load_b128 s[12:15], s[0:1], 0x60
	s_cmp_eq_u32 s20, 0
	v_lshrrev_b32_e32 v10, 4, v0
	s_cselect_b32 vcc_lo, -1, 0
	s_cmp_neq_f32 s24, 0
	s_delay_alu instid0(VALU_DEP_1)
	v_lshl_or_b32 v9, v10, 6, 0x300
	v_mul_u32_u24_e32 v10, 0xc0, v10
	s_cselect_b32 s3, -1, 0
	s_cmp_lg_u32 s16, 1
	s_wait_kmcnt 0x0
	global_load_b64 v[4:5], v2, s[4:5]
	s_wait_xcnt 0x0
	v_lshrrev_b32_e32 v2, 4, v1
	s_load_b64 s[4:5], s[0:1], 0x48
	v_bfe_u32 v1, v1, 4, 1
	v_and_b32_e32 v8, 15, v0
	s_delay_alu instid0(VALU_DEP_3) | instskip(NEXT) | instid1(VALU_DEP_3)
	v_mul_u64_e32 v[6:7], s[14:15], v[2:3]
	v_dual_lshlrev_b32 v2, 2, v2 :: v_dual_bitop2_b32 v0, 2, v1 bitop3:0x54
	v_lshlrev_b32_e32 v12, 1, v1
	s_delay_alu instid0(VALU_DEP_4) | instskip(SKIP_1) | instid1(VALU_DEP_3)
	v_mul_u32_u24_e32 v16, 12, v8
	v_lshl_or_b32 v11, v8, 2, v9
	v_dual_cndmask_b32 v12, v1, v12, vcc_lo :: v_dual_bitop2_b32 v13, 1, v12 bitop3:0x54
	s_delay_alu instid0(VALU_DEP_1)
	v_dual_cndmask_b32 v13, v0, v13 :: v_dual_add_nc_u32 v16, v10, v16
	v_add_nc_u64_e32 v[0:1], s[12:13], v[2:3]
	v_lshl_add_u64 v[2:3], v[6:7], 2, s[12:13]
	s_mov_b32 s12, 0
	s_cselect_b32 s13, -1, 0
	s_wait_loadcnt 0x0
	v_subrev_nc_u32_e32 v14, s17, v4
	v_subrev_nc_u32_e32 v15, s17, v5
	s_wait_xcnt 0x0
	v_cmp_lt_i32_e64 s0, v4, v5
	s_branch .LBB22_9
.LBB22_8:                               ;   in Loop: Header=BB22_9 Depth=1
	s_wait_xcnt 0x0
	s_or_b32 exec_lo, exec_lo, s1
	s_add_co_i32 s12, s12, 16
	s_delay_alu instid0(SALU_CYCLE_1)
	s_cmp_lt_i32 s12, s22
	s_cbranch_scc0 .LBB22_30
.LBB22_9:                               ; =>This Loop Header: Depth=1
                                        ;     Child Loop BB22_12 Depth 2
                                        ;       Child Loop BB22_16 Depth 3
	v_dual_mov_b32 v17, 0 :: v_dual_bitop2_b32 v4, s12, v8 bitop3:0x54
	s_delay_alu instid0(VALU_DEP_1) | instskip(NEXT) | instid1(VALU_DEP_3)
	v_ashrrev_i32_e32 v5, 31, v4
	s_and_saveexec_b32 s16, s0
	s_cbranch_execz .LBB22_18
; %bb.10:                               ;   in Loop: Header=BB22_9 Depth=1
	s_delay_alu instid0(VALU_DEP_1)
	v_lshl_add_u64 v[6:7], v[4:5], 2, s[10:11]
	v_dual_mov_b32 v17, 0 :: v_dual_mov_b32 v18, v14
	s_mov_b32 s18, 0
	v_cmp_gt_i32_e32 vcc_lo, s22, v4
	s_branch .LBB22_12
.LBB22_11:                              ;   in Loop: Header=BB22_12 Depth=2
	s_or_b32 exec_lo, exec_lo, s1
	v_add_nc_u32_e32 v18, 16, v18
	s_delay_alu instid0(VALU_DEP_1) | instskip(SKIP_1) | instid1(SALU_CYCLE_1)
	v_cmp_ge_i32_e64 s1, v18, v15
	s_or_b32 s18, s1, s18
	s_and_not1_b32 exec_lo, exec_lo, s18
	s_cbranch_execz .LBB22_17
.LBB22_12:                              ;   Parent Loop BB22_9 Depth=1
                                        ; =>  This Loop Header: Depth=2
                                        ;       Child Loop BB22_16 Depth 3
	s_delay_alu instid0(VALU_DEP_2) | instskip(SKIP_2) | instid1(VALU_DEP_2)
	v_dual_mov_b32 v21, 0 :: v_dual_add_nc_u32 v22, v18, v8
	v_dual_mov_b32 v19, 0 :: v_dual_mov_b32 v20, 0
	s_mov_b32 s19, exec_lo
	v_cmpx_lt_i32_e64 v22, v15
	s_cbranch_execz .LBB22_14
; %bb.13:                               ;   in Loop: Header=BB22_12 Depth=2
	global_load_b32 v21, v22, s[6:7] scale_offset
	s_wait_loadcnt 0x0
	v_subrev_nc_u32_e32 v21, s17, v21
	s_delay_alu instid0(VALU_DEP_1) | instskip(SKIP_1) | instid1(VALU_DEP_1)
	v_dual_lshlrev_b32 v19, 2, v22 :: v_dual_lshlrev_b32 v21, 1, v21
	s_wait_xcnt 0x0
	v_or_b32_e32 v22, v19, v12
	v_or_b32_e32 v23, v19, v13
	s_clause 0x1
	global_load_b32 v19, v22, s[8:9] scale_offset
	global_load_b32 v20, v23, s[8:9] scale_offset
.LBB22_14:                              ;   in Loop: Header=BB22_12 Depth=2
	s_wait_xcnt 0x0
	s_or_b32 exec_lo, exec_lo, s19
	ds_store_b32 v11, v21
	s_wait_loadcnt 0x0
	ds_store_2addr_b32 v16, v19, v20 offset1:1
	s_wait_dscnt 0x0
	s_barrier_signal -1
	s_barrier_wait -1
	s_and_saveexec_b32 s1, vcc_lo
	s_cbranch_execz .LBB22_11
; %bb.15:                               ;   in Loop: Header=BB22_12 Depth=2
	v_mov_b32_e32 v19, v10
	s_mov_b32 s19, 0
.LBB22_16:                              ;   Parent Loop BB22_9 Depth=1
                                        ;     Parent Loop BB22_12 Depth=2
                                        ; =>    This Inner Loop Header: Depth=3
	s_delay_alu instid0(SALU_CYCLE_1) | instskip(SKIP_1) | instid1(SALU_CYCLE_1)
	v_add_nc_u32_e32 v20, s19, v9
	s_add_co_i32 s19, s19, 8
	s_cmp_lg_u32 s19, 64
	ds_load_b64 v[20:21], v20
	s_wait_dscnt 0x0
	v_dual_mov_b32 v22, v20 :: v_dual_ashrrev_i32 v23, 31, v20
	v_dual_add_nc_u32 v24, 1, v20 :: v_dual_ashrrev_i32 v27, 31, v21
	v_dual_mov_b32 v26, v21 :: v_dual_add_nc_u32 v20, 1, v21
	s_wait_kmcnt 0x0
	s_delay_alu instid0(VALU_DEP_3) | instskip(NEXT) | instid1(VALU_DEP_3)
	v_mul_u64_e32 v[22:23], s[4:5], v[22:23]
	v_ashrrev_i32_e32 v25, 31, v24
	s_delay_alu instid0(VALU_DEP_3) | instskip(SKIP_1) | instid1(VALU_DEP_3)
	v_mul_u64_e32 v[26:27], s[4:5], v[26:27]
	v_ashrrev_i32_e32 v21, 31, v20
	v_mul_u64_e32 v[24:25], s[4:5], v[24:25]
	s_delay_alu instid0(VALU_DEP_2)
	v_mul_u64_e32 v[20:21], s[4:5], v[20:21]
	v_lshl_add_u64 v[22:23], v[22:23], 2, v[6:7]
	global_load_b32 v28, v[22:23], off
	s_wait_xcnt 0x0
	v_lshl_add_u64 v[22:23], v[24:25], 2, v[6:7]
	v_lshl_add_u64 v[24:25], v[26:27], 2, v[6:7]
	;; [unrolled: 1-line block ×3, first 2 shown]
	s_clause 0x2
	global_load_b32 v26, v[22:23], off
	global_load_b32 v27, v[24:25], off
	;; [unrolled: 1-line block ×3, first 2 shown]
	s_wait_xcnt 0x0
	ds_load_b64 v[20:21], v19
	ds_load_2addr_b32 v[22:23], v19 offset0:3 offset1:4
	s_wait_loadcnt_dscnt 0x301
	v_dual_add_nc_u32 v19, 24, v19 :: v_dual_fmac_f32 v17, v20, v28
	s_wait_loadcnt 0x2
	s_delay_alu instid0(VALU_DEP_1) | instskip(SKIP_1) | instid1(VALU_DEP_1)
	v_fmac_f32_e32 v17, v21, v26
	s_wait_loadcnt_dscnt 0x100
	v_fmac_f32_e32 v17, v22, v27
	s_wait_loadcnt 0x0
	s_delay_alu instid0(VALU_DEP_1)
	v_fmac_f32_e32 v17, v23, v29
	s_cbranch_scc1 .LBB22_16
	s_branch .LBB22_11
.LBB22_17:                              ;   in Loop: Header=BB22_9 Depth=1
	s_or_b32 exec_lo, exec_lo, s18
.LBB22_18:                              ;   in Loop: Header=BB22_9 Depth=1
	s_delay_alu instid0(SALU_CYCLE_1) | instskip(NEXT) | instid1(SALU_CYCLE_1)
	s_or_b32 exec_lo, exec_lo, s16
	s_mov_b32 s1, exec_lo
	v_cmpx_gt_i32_e64 s22, v4
	s_cbranch_execz .LBB22_8
; %bb.19:                               ;   in Loop: Header=BB22_9 Depth=1
	s_and_b32 vcc_lo, exec_lo, s3
	s_cbranch_vccz .LBB22_25
; %bb.20:                               ;   in Loop: Header=BB22_9 Depth=1
	s_and_b32 vcc_lo, exec_lo, s13
	s_mov_b32 s16, -1
	s_cbranch_vccz .LBB22_22
; %bb.21:                               ;   in Loop: Header=BB22_9 Depth=1
	v_lshl_add_u64 v[6:7], v[4:5], 2, v[2:3]
	v_mul_f32_e32 v19, s2, v17
	s_mov_b32 s16, 0
	global_load_b32 v18, v[6:7], off
	s_wait_loadcnt 0x0
	v_fmac_f32_e32 v19, s24, v18
	global_store_b32 v[6:7], v19, off
.LBB22_22:                              ;   in Loop: Header=BB22_9 Depth=1
	s_and_not1_b32 vcc_lo, exec_lo, s16
	s_cbranch_vccnz .LBB22_24
; %bb.23:                               ;   in Loop: Header=BB22_9 Depth=1
	s_wait_xcnt 0x0
	v_mul_u64_e32 v[6:7], s[14:15], v[4:5]
	v_mul_f32_e32 v19, s2, v17
	s_delay_alu instid0(VALU_DEP_2)
	v_lshl_add_u64 v[6:7], v[6:7], 2, v[0:1]
	global_load_b32 v18, v[6:7], off
	s_wait_loadcnt 0x0
	v_fmac_f32_e32 v19, s24, v18
	global_store_b32 v[6:7], v19, off
.LBB22_24:                              ;   in Loop: Header=BB22_9 Depth=1
	s_cbranch_execnz .LBB22_8
	s_branch .LBB22_26
.LBB22_25:                              ;   in Loop: Header=BB22_9 Depth=1
.LBB22_26:                              ;   in Loop: Header=BB22_9 Depth=1
	s_wait_xcnt 0x0
	v_mul_f32_e32 v6, s2, v17
	s_and_b32 vcc_lo, exec_lo, s13
	s_mov_b32 s16, -1
	s_cbranch_vccz .LBB22_28
; %bb.27:                               ;   in Loop: Header=BB22_9 Depth=1
	v_lshl_add_u64 v[18:19], v[4:5], 2, v[2:3]
	s_mov_b32 s16, 0
	global_store_b32 v[18:19], v6, off
.LBB22_28:                              ;   in Loop: Header=BB22_9 Depth=1
	s_and_not1_b32 vcc_lo, exec_lo, s16
	s_cbranch_vccnz .LBB22_8
; %bb.29:                               ;   in Loop: Header=BB22_9 Depth=1
	v_mul_u64_e32 v[4:5], s[14:15], v[4:5]
	s_delay_alu instid0(VALU_DEP_1)
	v_lshl_add_u64 v[4:5], v[4:5], 2, v[0:1]
	global_store_b32 v[4:5], v6, off
	s_branch .LBB22_8
.LBB22_30:
	s_endpgm
	.section	.rodata,"a",@progbits
	.p2align	6, 0x0
	.amdhsa_kernel _ZN9rocsparseL29bsrmmnt_small_blockdim_kernelILj64ELj16ELj2EiiffffEEv20rocsparse_direction_T3_S2_llNS_24const_host_device_scalarIT7_EEPKT2_PKS2_PKT4_PKT5_llS5_PT6_ll16rocsparse_order_21rocsparse_index_base_b
		.amdhsa_group_segment_fixed_size 1024
		.amdhsa_private_segment_fixed_size 0
		.amdhsa_kernarg_size 392
		.amdhsa_user_sgpr_count 2
		.amdhsa_user_sgpr_dispatch_ptr 0
		.amdhsa_user_sgpr_queue_ptr 0
		.amdhsa_user_sgpr_kernarg_segment_ptr 1
		.amdhsa_user_sgpr_dispatch_id 0
		.amdhsa_user_sgpr_kernarg_preload_length 0
		.amdhsa_user_sgpr_kernarg_preload_offset 0
		.amdhsa_user_sgpr_private_segment_size 0
		.amdhsa_wavefront_size32 1
		.amdhsa_uses_dynamic_stack 0
		.amdhsa_enable_private_segment 0
		.amdhsa_system_sgpr_workgroup_id_x 1
		.amdhsa_system_sgpr_workgroup_id_y 0
		.amdhsa_system_sgpr_workgroup_id_z 0
		.amdhsa_system_sgpr_workgroup_info 0
		.amdhsa_system_vgpr_workitem_id 0
		.amdhsa_next_free_vgpr 30
		.amdhsa_next_free_sgpr 26
		.amdhsa_named_barrier_count 0
		.amdhsa_reserve_vcc 1
		.amdhsa_float_round_mode_32 0
		.amdhsa_float_round_mode_16_64 0
		.amdhsa_float_denorm_mode_32 3
		.amdhsa_float_denorm_mode_16_64 3
		.amdhsa_fp16_overflow 0
		.amdhsa_memory_ordered 1
		.amdhsa_forward_progress 1
		.amdhsa_inst_pref_size 10
		.amdhsa_round_robin_scheduling 0
		.amdhsa_exception_fp_ieee_invalid_op 0
		.amdhsa_exception_fp_denorm_src 0
		.amdhsa_exception_fp_ieee_div_zero 0
		.amdhsa_exception_fp_ieee_overflow 0
		.amdhsa_exception_fp_ieee_underflow 0
		.amdhsa_exception_fp_ieee_inexact 0
		.amdhsa_exception_int_div_zero 0
	.end_amdhsa_kernel
	.section	.text._ZN9rocsparseL29bsrmmnt_small_blockdim_kernelILj64ELj16ELj2EiiffffEEv20rocsparse_direction_T3_S2_llNS_24const_host_device_scalarIT7_EEPKT2_PKS2_PKT4_PKT5_llS5_PT6_ll16rocsparse_order_21rocsparse_index_base_b,"axG",@progbits,_ZN9rocsparseL29bsrmmnt_small_blockdim_kernelILj64ELj16ELj2EiiffffEEv20rocsparse_direction_T3_S2_llNS_24const_host_device_scalarIT7_EEPKT2_PKS2_PKT4_PKT5_llS5_PT6_ll16rocsparse_order_21rocsparse_index_base_b,comdat
.Lfunc_end22:
	.size	_ZN9rocsparseL29bsrmmnt_small_blockdim_kernelILj64ELj16ELj2EiiffffEEv20rocsparse_direction_T3_S2_llNS_24const_host_device_scalarIT7_EEPKT2_PKS2_PKT4_PKT5_llS5_PT6_ll16rocsparse_order_21rocsparse_index_base_b, .Lfunc_end22-_ZN9rocsparseL29bsrmmnt_small_blockdim_kernelILj64ELj16ELj2EiiffffEEv20rocsparse_direction_T3_S2_llNS_24const_host_device_scalarIT7_EEPKT2_PKS2_PKT4_PKT5_llS5_PT6_ll16rocsparse_order_21rocsparse_index_base_b
                                        ; -- End function
	.set _ZN9rocsparseL29bsrmmnt_small_blockdim_kernelILj64ELj16ELj2EiiffffEEv20rocsparse_direction_T3_S2_llNS_24const_host_device_scalarIT7_EEPKT2_PKS2_PKT4_PKT5_llS5_PT6_ll16rocsparse_order_21rocsparse_index_base_b.num_vgpr, 30
	.set _ZN9rocsparseL29bsrmmnt_small_blockdim_kernelILj64ELj16ELj2EiiffffEEv20rocsparse_direction_T3_S2_llNS_24const_host_device_scalarIT7_EEPKT2_PKS2_PKT4_PKT5_llS5_PT6_ll16rocsparse_order_21rocsparse_index_base_b.num_agpr, 0
	.set _ZN9rocsparseL29bsrmmnt_small_blockdim_kernelILj64ELj16ELj2EiiffffEEv20rocsparse_direction_T3_S2_llNS_24const_host_device_scalarIT7_EEPKT2_PKS2_PKT4_PKT5_llS5_PT6_ll16rocsparse_order_21rocsparse_index_base_b.numbered_sgpr, 26
	.set _ZN9rocsparseL29bsrmmnt_small_blockdim_kernelILj64ELj16ELj2EiiffffEEv20rocsparse_direction_T3_S2_llNS_24const_host_device_scalarIT7_EEPKT2_PKS2_PKT4_PKT5_llS5_PT6_ll16rocsparse_order_21rocsparse_index_base_b.num_named_barrier, 0
	.set _ZN9rocsparseL29bsrmmnt_small_blockdim_kernelILj64ELj16ELj2EiiffffEEv20rocsparse_direction_T3_S2_llNS_24const_host_device_scalarIT7_EEPKT2_PKS2_PKT4_PKT5_llS5_PT6_ll16rocsparse_order_21rocsparse_index_base_b.private_seg_size, 0
	.set _ZN9rocsparseL29bsrmmnt_small_blockdim_kernelILj64ELj16ELj2EiiffffEEv20rocsparse_direction_T3_S2_llNS_24const_host_device_scalarIT7_EEPKT2_PKS2_PKT4_PKT5_llS5_PT6_ll16rocsparse_order_21rocsparse_index_base_b.uses_vcc, 1
	.set _ZN9rocsparseL29bsrmmnt_small_blockdim_kernelILj64ELj16ELj2EiiffffEEv20rocsparse_direction_T3_S2_llNS_24const_host_device_scalarIT7_EEPKT2_PKS2_PKT4_PKT5_llS5_PT6_ll16rocsparse_order_21rocsparse_index_base_b.uses_flat_scratch, 0
	.set _ZN9rocsparseL29bsrmmnt_small_blockdim_kernelILj64ELj16ELj2EiiffffEEv20rocsparse_direction_T3_S2_llNS_24const_host_device_scalarIT7_EEPKT2_PKS2_PKT4_PKT5_llS5_PT6_ll16rocsparse_order_21rocsparse_index_base_b.has_dyn_sized_stack, 0
	.set _ZN9rocsparseL29bsrmmnt_small_blockdim_kernelILj64ELj16ELj2EiiffffEEv20rocsparse_direction_T3_S2_llNS_24const_host_device_scalarIT7_EEPKT2_PKS2_PKT4_PKT5_llS5_PT6_ll16rocsparse_order_21rocsparse_index_base_b.has_recursion, 0
	.set _ZN9rocsparseL29bsrmmnt_small_blockdim_kernelILj64ELj16ELj2EiiffffEEv20rocsparse_direction_T3_S2_llNS_24const_host_device_scalarIT7_EEPKT2_PKS2_PKT4_PKT5_llS5_PT6_ll16rocsparse_order_21rocsparse_index_base_b.has_indirect_call, 0
	.section	.AMDGPU.csdata,"",@progbits
; Kernel info:
; codeLenInByte = 1260
; TotalNumSgprs: 28
; NumVgprs: 30
; ScratchSize: 0
; MemoryBound: 0
; FloatMode: 240
; IeeeMode: 1
; LDSByteSize: 1024 bytes/workgroup (compile time only)
; SGPRBlocks: 0
; VGPRBlocks: 1
; NumSGPRsForWavesPerEU: 28
; NumVGPRsForWavesPerEU: 30
; NamedBarCnt: 0
; Occupancy: 16
; WaveLimiterHint : 0
; COMPUTE_PGM_RSRC2:SCRATCH_EN: 0
; COMPUTE_PGM_RSRC2:USER_SGPR: 2
; COMPUTE_PGM_RSRC2:TRAP_HANDLER: 0
; COMPUTE_PGM_RSRC2:TGID_X_EN: 1
; COMPUTE_PGM_RSRC2:TGID_Y_EN: 0
; COMPUTE_PGM_RSRC2:TGID_Z_EN: 0
; COMPUTE_PGM_RSRC2:TIDIG_COMP_CNT: 0
	.section	.text._ZN9rocsparseL29bsrmmnt_small_blockdim_kernelILj64ELj32ELj2EiiffffEEv20rocsparse_direction_T3_S2_llNS_24const_host_device_scalarIT7_EEPKT2_PKS2_PKT4_PKT5_llS5_PT6_ll16rocsparse_order_21rocsparse_index_base_b,"axG",@progbits,_ZN9rocsparseL29bsrmmnt_small_blockdim_kernelILj64ELj32ELj2EiiffffEEv20rocsparse_direction_T3_S2_llNS_24const_host_device_scalarIT7_EEPKT2_PKS2_PKT4_PKT5_llS5_PT6_ll16rocsparse_order_21rocsparse_index_base_b,comdat
	.globl	_ZN9rocsparseL29bsrmmnt_small_blockdim_kernelILj64ELj32ELj2EiiffffEEv20rocsparse_direction_T3_S2_llNS_24const_host_device_scalarIT7_EEPKT2_PKS2_PKT4_PKT5_llS5_PT6_ll16rocsparse_order_21rocsparse_index_base_b ; -- Begin function _ZN9rocsparseL29bsrmmnt_small_blockdim_kernelILj64ELj32ELj2EiiffffEEv20rocsparse_direction_T3_S2_llNS_24const_host_device_scalarIT7_EEPKT2_PKS2_PKT4_PKT5_llS5_PT6_ll16rocsparse_order_21rocsparse_index_base_b
	.p2align	8
	.type	_ZN9rocsparseL29bsrmmnt_small_blockdim_kernelILj64ELj32ELj2EiiffffEEv20rocsparse_direction_T3_S2_llNS_24const_host_device_scalarIT7_EEPKT2_PKS2_PKT4_PKT5_llS5_PT6_ll16rocsparse_order_21rocsparse_index_base_b,@function
_ZN9rocsparseL29bsrmmnt_small_blockdim_kernelILj64ELj32ELj2EiiffffEEv20rocsparse_direction_T3_S2_llNS_24const_host_device_scalarIT7_EEPKT2_PKS2_PKT4_PKT5_llS5_PT6_ll16rocsparse_order_21rocsparse_index_base_b: ; @_ZN9rocsparseL29bsrmmnt_small_blockdim_kernelILj64ELj32ELj2EiiffffEEv20rocsparse_direction_T3_S2_llNS_24const_host_device_scalarIT7_EEPKT2_PKS2_PKT4_PKT5_llS5_PT6_ll16rocsparse_order_21rocsparse_index_base_b
; %bb.0:
	s_clause 0x2
	s_load_b96 s[16:18], s[0:1], 0x78
	s_load_b64 s[2:3], s[0:1], 0x20
	s_load_b64 s[24:25], s[0:1], 0x58
	s_wait_kmcnt 0x0
	s_bitcmp1_b32 s18, 0
	s_cselect_b32 s4, -1, 0
	s_delay_alu instid0(SALU_CYCLE_1)
	s_and_b32 vcc_lo, exec_lo, s4
	s_xor_b32 s4, s4, -1
	s_cbranch_vccnz .LBB23_2
; %bb.1:
	s_load_b32 s2, s[2:3], 0x0
.LBB23_2:
	s_and_not1_b32 vcc_lo, exec_lo, s4
	s_cbranch_vccnz .LBB23_4
; %bb.3:
	s_load_b32 s24, s[24:25], 0x0
.LBB23_4:
	s_wait_kmcnt 0x0
	s_cmp_eq_f32 s2, 0
	s_cselect_b32 s3, -1, 0
	s_cmp_eq_f32 s24, 1.0
	s_cselect_b32 s4, -1, 0
	s_delay_alu instid0(SALU_CYCLE_1) | instskip(NEXT) | instid1(SALU_CYCLE_1)
	s_and_b32 s3, s3, s4
	s_and_b32 vcc_lo, exec_lo, s3
	s_cbranch_vccnz .LBB23_30
; %bb.5:
	s_clause 0x1
	s_load_b32 s3, s[0:1], 0x94
	s_load_b96 s[20:22], s[0:1], 0x0
	s_bfe_u32 s4, ttmp6, 0x4000c
	s_and_b32 s5, ttmp6, 15
	s_add_co_i32 s4, s4, 1
	s_getreg_b32 s6, hwreg(HW_REG_IB_STS2, 6, 4)
	s_mul_i32 s4, ttmp9, s4
	s_delay_alu instid0(SALU_CYCLE_1) | instskip(SKIP_4) | instid1(SALU_CYCLE_1)
	s_add_co_i32 s5, s5, s4
	s_wait_kmcnt 0x0
	s_and_b32 s3, s3, 0xffff
	s_cmp_eq_u32 s6, 0
	s_cselect_b32 s4, ttmp9, s5
	v_mad_u32 v1, s4, s3, v0
	s_mov_b32 s3, exec_lo
	s_delay_alu instid0(VALU_DEP_1) | instskip(NEXT) | instid1(VALU_DEP_1)
	v_lshrrev_b32_e32 v2, 6, v1
	v_cmpx_gt_i32_e64 s21, v2
	s_cbranch_execz .LBB23_30
; %bb.6:
	s_cmp_lt_i32 s22, 1
	s_cbranch_scc1 .LBB23_30
; %bb.7:
	s_load_b256 s[4:11], s[0:1], 0x28
	v_dual_mov_b32 v3, 0 :: v_dual_lshlrev_b32 v2, 2, v2
	s_load_b128 s[12:15], s[0:1], 0x60
	s_cmp_eq_u32 s20, 0
	v_lshrrev_b32_e32 v10, 5, v0
	s_cselect_b32 vcc_lo, -1, 0
	s_cmp_neq_f32 s24, 0
	s_delay_alu instid0(VALU_DEP_1)
	v_lshl_or_b32 v9, v10, 7, 0x300
	v_mul_u32_u24_e32 v10, 0x180, v10
	s_cselect_b32 s3, -1, 0
	s_cmp_lg_u32 s16, 1
	s_wait_kmcnt 0x0
	global_load_b64 v[4:5], v2, s[4:5]
	s_wait_xcnt 0x0
	v_lshrrev_b32_e32 v2, 5, v1
	s_load_b64 s[4:5], s[0:1], 0x48
	v_bfe_u32 v1, v1, 5, 1
	v_and_b32_e32 v8, 31, v0
	s_delay_alu instid0(VALU_DEP_3) | instskip(NEXT) | instid1(VALU_DEP_3)
	v_mul_u64_e32 v[6:7], s[14:15], v[2:3]
	v_dual_lshlrev_b32 v2, 2, v2 :: v_dual_bitop2_b32 v0, 2, v1 bitop3:0x54
	v_lshlrev_b32_e32 v12, 1, v1
	s_delay_alu instid0(VALU_DEP_4) | instskip(SKIP_1) | instid1(VALU_DEP_3)
	v_mul_u32_u24_e32 v16, 12, v8
	v_lshl_or_b32 v11, v8, 2, v9
	v_dual_cndmask_b32 v12, v1, v12, vcc_lo :: v_dual_bitop2_b32 v13, 1, v12 bitop3:0x54
	s_delay_alu instid0(VALU_DEP_1)
	v_dual_cndmask_b32 v13, v0, v13 :: v_dual_add_nc_u32 v16, v10, v16
	v_add_nc_u64_e32 v[0:1], s[12:13], v[2:3]
	v_lshl_add_u64 v[2:3], v[6:7], 2, s[12:13]
	s_mov_b32 s12, 0
	s_cselect_b32 s13, -1, 0
	s_wait_loadcnt 0x0
	v_subrev_nc_u32_e32 v14, s17, v4
	v_subrev_nc_u32_e32 v15, s17, v5
	s_wait_xcnt 0x0
	v_cmp_lt_i32_e64 s0, v4, v5
	s_branch .LBB23_9
.LBB23_8:                               ;   in Loop: Header=BB23_9 Depth=1
	s_wait_xcnt 0x0
	s_or_b32 exec_lo, exec_lo, s1
	s_add_co_i32 s12, s12, 32
	s_delay_alu instid0(SALU_CYCLE_1)
	s_cmp_lt_i32 s12, s22
	s_cbranch_scc0 .LBB23_30
.LBB23_9:                               ; =>This Loop Header: Depth=1
                                        ;     Child Loop BB23_12 Depth 2
                                        ;       Child Loop BB23_16 Depth 3
	v_dual_mov_b32 v17, 0 :: v_dual_bitop2_b32 v4, s12, v8 bitop3:0x54
	s_delay_alu instid0(VALU_DEP_1) | instskip(NEXT) | instid1(VALU_DEP_3)
	v_ashrrev_i32_e32 v5, 31, v4
	s_and_saveexec_b32 s16, s0
	s_cbranch_execz .LBB23_18
; %bb.10:                               ;   in Loop: Header=BB23_9 Depth=1
	s_delay_alu instid0(VALU_DEP_1)
	v_lshl_add_u64 v[6:7], v[4:5], 2, s[10:11]
	v_dual_mov_b32 v17, 0 :: v_dual_mov_b32 v18, v14
	s_mov_b32 s18, 0
	v_cmp_gt_i32_e32 vcc_lo, s22, v4
	s_branch .LBB23_12
.LBB23_11:                              ;   in Loop: Header=BB23_12 Depth=2
	s_or_b32 exec_lo, exec_lo, s1
	v_add_nc_u32_e32 v18, 32, v18
	s_delay_alu instid0(VALU_DEP_1) | instskip(SKIP_1) | instid1(SALU_CYCLE_1)
	v_cmp_ge_i32_e64 s1, v18, v15
	s_or_b32 s18, s1, s18
	s_and_not1_b32 exec_lo, exec_lo, s18
	s_cbranch_execz .LBB23_17
.LBB23_12:                              ;   Parent Loop BB23_9 Depth=1
                                        ; =>  This Loop Header: Depth=2
                                        ;       Child Loop BB23_16 Depth 3
	s_delay_alu instid0(VALU_DEP_2) | instskip(SKIP_2) | instid1(VALU_DEP_2)
	v_dual_mov_b32 v21, 0 :: v_dual_add_nc_u32 v22, v18, v8
	v_dual_mov_b32 v19, 0 :: v_dual_mov_b32 v20, 0
	s_mov_b32 s19, exec_lo
	v_cmpx_lt_i32_e64 v22, v15
	s_cbranch_execz .LBB23_14
; %bb.13:                               ;   in Loop: Header=BB23_12 Depth=2
	global_load_b32 v21, v22, s[6:7] scale_offset
	s_wait_loadcnt 0x0
	v_subrev_nc_u32_e32 v21, s17, v21
	s_delay_alu instid0(VALU_DEP_1) | instskip(SKIP_1) | instid1(VALU_DEP_1)
	v_dual_lshlrev_b32 v19, 2, v22 :: v_dual_lshlrev_b32 v21, 1, v21
	s_wait_xcnt 0x0
	v_or_b32_e32 v22, v19, v12
	v_or_b32_e32 v23, v19, v13
	s_clause 0x1
	global_load_b32 v19, v22, s[8:9] scale_offset
	global_load_b32 v20, v23, s[8:9] scale_offset
.LBB23_14:                              ;   in Loop: Header=BB23_12 Depth=2
	s_wait_xcnt 0x0
	s_or_b32 exec_lo, exec_lo, s19
	ds_store_b32 v11, v21
	s_wait_loadcnt 0x0
	ds_store_2addr_b32 v16, v19, v20 offset1:1
	s_wait_dscnt 0x0
	s_barrier_signal -1
	s_barrier_wait -1
	s_and_saveexec_b32 s1, vcc_lo
	s_cbranch_execz .LBB23_11
; %bb.15:                               ;   in Loop: Header=BB23_12 Depth=2
	v_mov_b32_e32 v19, v10
	s_mov_b32 s19, 0
.LBB23_16:                              ;   Parent Loop BB23_9 Depth=1
                                        ;     Parent Loop BB23_12 Depth=2
                                        ; =>    This Inner Loop Header: Depth=3
	s_delay_alu instid0(SALU_CYCLE_1) | instskip(SKIP_1) | instid1(SALU_CYCLE_1)
	v_add_nc_u32_e32 v20, s19, v9
	s_add_co_i32 s19, s19, 8
	s_cmp_lg_u32 s19, 0x80
	ds_load_b64 v[20:21], v20
	s_wait_dscnt 0x0
	v_dual_mov_b32 v22, v20 :: v_dual_ashrrev_i32 v23, 31, v20
	v_dual_add_nc_u32 v24, 1, v20 :: v_dual_ashrrev_i32 v27, 31, v21
	v_dual_mov_b32 v26, v21 :: v_dual_add_nc_u32 v20, 1, v21
	s_wait_kmcnt 0x0
	s_delay_alu instid0(VALU_DEP_3) | instskip(NEXT) | instid1(VALU_DEP_3)
	v_mul_u64_e32 v[22:23], s[4:5], v[22:23]
	v_ashrrev_i32_e32 v25, 31, v24
	s_delay_alu instid0(VALU_DEP_3) | instskip(SKIP_1) | instid1(VALU_DEP_3)
	v_mul_u64_e32 v[26:27], s[4:5], v[26:27]
	v_ashrrev_i32_e32 v21, 31, v20
	v_mul_u64_e32 v[24:25], s[4:5], v[24:25]
	s_delay_alu instid0(VALU_DEP_2)
	v_mul_u64_e32 v[20:21], s[4:5], v[20:21]
	v_lshl_add_u64 v[22:23], v[22:23], 2, v[6:7]
	global_load_b32 v28, v[22:23], off
	s_wait_xcnt 0x0
	v_lshl_add_u64 v[22:23], v[24:25], 2, v[6:7]
	v_lshl_add_u64 v[24:25], v[26:27], 2, v[6:7]
	;; [unrolled: 1-line block ×3, first 2 shown]
	s_clause 0x2
	global_load_b32 v26, v[22:23], off
	global_load_b32 v27, v[24:25], off
	;; [unrolled: 1-line block ×3, first 2 shown]
	s_wait_xcnt 0x0
	ds_load_b64 v[20:21], v19
	ds_load_2addr_b32 v[22:23], v19 offset0:3 offset1:4
	s_wait_loadcnt_dscnt 0x301
	v_dual_add_nc_u32 v19, 24, v19 :: v_dual_fmac_f32 v17, v20, v28
	s_wait_loadcnt 0x2
	s_delay_alu instid0(VALU_DEP_1) | instskip(SKIP_1) | instid1(VALU_DEP_1)
	v_fmac_f32_e32 v17, v21, v26
	s_wait_loadcnt_dscnt 0x100
	v_fmac_f32_e32 v17, v22, v27
	s_wait_loadcnt 0x0
	s_delay_alu instid0(VALU_DEP_1)
	v_fmac_f32_e32 v17, v23, v29
	s_cbranch_scc1 .LBB23_16
	s_branch .LBB23_11
.LBB23_17:                              ;   in Loop: Header=BB23_9 Depth=1
	s_or_b32 exec_lo, exec_lo, s18
.LBB23_18:                              ;   in Loop: Header=BB23_9 Depth=1
	s_delay_alu instid0(SALU_CYCLE_1) | instskip(NEXT) | instid1(SALU_CYCLE_1)
	s_or_b32 exec_lo, exec_lo, s16
	s_mov_b32 s1, exec_lo
	v_cmpx_gt_i32_e64 s22, v4
	s_cbranch_execz .LBB23_8
; %bb.19:                               ;   in Loop: Header=BB23_9 Depth=1
	s_and_b32 vcc_lo, exec_lo, s3
	s_cbranch_vccz .LBB23_25
; %bb.20:                               ;   in Loop: Header=BB23_9 Depth=1
	s_and_b32 vcc_lo, exec_lo, s13
	s_mov_b32 s16, -1
	s_cbranch_vccz .LBB23_22
; %bb.21:                               ;   in Loop: Header=BB23_9 Depth=1
	v_lshl_add_u64 v[6:7], v[4:5], 2, v[2:3]
	v_mul_f32_e32 v19, s2, v17
	s_mov_b32 s16, 0
	global_load_b32 v18, v[6:7], off
	s_wait_loadcnt 0x0
	v_fmac_f32_e32 v19, s24, v18
	global_store_b32 v[6:7], v19, off
.LBB23_22:                              ;   in Loop: Header=BB23_9 Depth=1
	s_and_not1_b32 vcc_lo, exec_lo, s16
	s_cbranch_vccnz .LBB23_24
; %bb.23:                               ;   in Loop: Header=BB23_9 Depth=1
	s_wait_xcnt 0x0
	v_mul_u64_e32 v[6:7], s[14:15], v[4:5]
	v_mul_f32_e32 v19, s2, v17
	s_delay_alu instid0(VALU_DEP_2)
	v_lshl_add_u64 v[6:7], v[6:7], 2, v[0:1]
	global_load_b32 v18, v[6:7], off
	s_wait_loadcnt 0x0
	v_fmac_f32_e32 v19, s24, v18
	global_store_b32 v[6:7], v19, off
.LBB23_24:                              ;   in Loop: Header=BB23_9 Depth=1
	s_cbranch_execnz .LBB23_8
	s_branch .LBB23_26
.LBB23_25:                              ;   in Loop: Header=BB23_9 Depth=1
.LBB23_26:                              ;   in Loop: Header=BB23_9 Depth=1
	s_wait_xcnt 0x0
	v_mul_f32_e32 v6, s2, v17
	s_and_b32 vcc_lo, exec_lo, s13
	s_mov_b32 s16, -1
	s_cbranch_vccz .LBB23_28
; %bb.27:                               ;   in Loop: Header=BB23_9 Depth=1
	v_lshl_add_u64 v[18:19], v[4:5], 2, v[2:3]
	s_mov_b32 s16, 0
	global_store_b32 v[18:19], v6, off
.LBB23_28:                              ;   in Loop: Header=BB23_9 Depth=1
	s_and_not1_b32 vcc_lo, exec_lo, s16
	s_cbranch_vccnz .LBB23_8
; %bb.29:                               ;   in Loop: Header=BB23_9 Depth=1
	v_mul_u64_e32 v[4:5], s[14:15], v[4:5]
	s_delay_alu instid0(VALU_DEP_1)
	v_lshl_add_u64 v[4:5], v[4:5], 2, v[0:1]
	global_store_b32 v[4:5], v6, off
	s_branch .LBB23_8
.LBB23_30:
	s_endpgm
	.section	.rodata,"a",@progbits
	.p2align	6, 0x0
	.amdhsa_kernel _ZN9rocsparseL29bsrmmnt_small_blockdim_kernelILj64ELj32ELj2EiiffffEEv20rocsparse_direction_T3_S2_llNS_24const_host_device_scalarIT7_EEPKT2_PKS2_PKT4_PKT5_llS5_PT6_ll16rocsparse_order_21rocsparse_index_base_b
		.amdhsa_group_segment_fixed_size 1024
		.amdhsa_private_segment_fixed_size 0
		.amdhsa_kernarg_size 392
		.amdhsa_user_sgpr_count 2
		.amdhsa_user_sgpr_dispatch_ptr 0
		.amdhsa_user_sgpr_queue_ptr 0
		.amdhsa_user_sgpr_kernarg_segment_ptr 1
		.amdhsa_user_sgpr_dispatch_id 0
		.amdhsa_user_sgpr_kernarg_preload_length 0
		.amdhsa_user_sgpr_kernarg_preload_offset 0
		.amdhsa_user_sgpr_private_segment_size 0
		.amdhsa_wavefront_size32 1
		.amdhsa_uses_dynamic_stack 0
		.amdhsa_enable_private_segment 0
		.amdhsa_system_sgpr_workgroup_id_x 1
		.amdhsa_system_sgpr_workgroup_id_y 0
		.amdhsa_system_sgpr_workgroup_id_z 0
		.amdhsa_system_sgpr_workgroup_info 0
		.amdhsa_system_vgpr_workitem_id 0
		.amdhsa_next_free_vgpr 30
		.amdhsa_next_free_sgpr 26
		.amdhsa_named_barrier_count 0
		.amdhsa_reserve_vcc 1
		.amdhsa_float_round_mode_32 0
		.amdhsa_float_round_mode_16_64 0
		.amdhsa_float_denorm_mode_32 3
		.amdhsa_float_denorm_mode_16_64 3
		.amdhsa_fp16_overflow 0
		.amdhsa_memory_ordered 1
		.amdhsa_forward_progress 1
		.amdhsa_inst_pref_size 10
		.amdhsa_round_robin_scheduling 0
		.amdhsa_exception_fp_ieee_invalid_op 0
		.amdhsa_exception_fp_denorm_src 0
		.amdhsa_exception_fp_ieee_div_zero 0
		.amdhsa_exception_fp_ieee_overflow 0
		.amdhsa_exception_fp_ieee_underflow 0
		.amdhsa_exception_fp_ieee_inexact 0
		.amdhsa_exception_int_div_zero 0
	.end_amdhsa_kernel
	.section	.text._ZN9rocsparseL29bsrmmnt_small_blockdim_kernelILj64ELj32ELj2EiiffffEEv20rocsparse_direction_T3_S2_llNS_24const_host_device_scalarIT7_EEPKT2_PKS2_PKT4_PKT5_llS5_PT6_ll16rocsparse_order_21rocsparse_index_base_b,"axG",@progbits,_ZN9rocsparseL29bsrmmnt_small_blockdim_kernelILj64ELj32ELj2EiiffffEEv20rocsparse_direction_T3_S2_llNS_24const_host_device_scalarIT7_EEPKT2_PKS2_PKT4_PKT5_llS5_PT6_ll16rocsparse_order_21rocsparse_index_base_b,comdat
.Lfunc_end23:
	.size	_ZN9rocsparseL29bsrmmnt_small_blockdim_kernelILj64ELj32ELj2EiiffffEEv20rocsparse_direction_T3_S2_llNS_24const_host_device_scalarIT7_EEPKT2_PKS2_PKT4_PKT5_llS5_PT6_ll16rocsparse_order_21rocsparse_index_base_b, .Lfunc_end23-_ZN9rocsparseL29bsrmmnt_small_blockdim_kernelILj64ELj32ELj2EiiffffEEv20rocsparse_direction_T3_S2_llNS_24const_host_device_scalarIT7_EEPKT2_PKS2_PKT4_PKT5_llS5_PT6_ll16rocsparse_order_21rocsparse_index_base_b
                                        ; -- End function
	.set _ZN9rocsparseL29bsrmmnt_small_blockdim_kernelILj64ELj32ELj2EiiffffEEv20rocsparse_direction_T3_S2_llNS_24const_host_device_scalarIT7_EEPKT2_PKS2_PKT4_PKT5_llS5_PT6_ll16rocsparse_order_21rocsparse_index_base_b.num_vgpr, 30
	.set _ZN9rocsparseL29bsrmmnt_small_blockdim_kernelILj64ELj32ELj2EiiffffEEv20rocsparse_direction_T3_S2_llNS_24const_host_device_scalarIT7_EEPKT2_PKS2_PKT4_PKT5_llS5_PT6_ll16rocsparse_order_21rocsparse_index_base_b.num_agpr, 0
	.set _ZN9rocsparseL29bsrmmnt_small_blockdim_kernelILj64ELj32ELj2EiiffffEEv20rocsparse_direction_T3_S2_llNS_24const_host_device_scalarIT7_EEPKT2_PKS2_PKT4_PKT5_llS5_PT6_ll16rocsparse_order_21rocsparse_index_base_b.numbered_sgpr, 26
	.set _ZN9rocsparseL29bsrmmnt_small_blockdim_kernelILj64ELj32ELj2EiiffffEEv20rocsparse_direction_T3_S2_llNS_24const_host_device_scalarIT7_EEPKT2_PKS2_PKT4_PKT5_llS5_PT6_ll16rocsparse_order_21rocsparse_index_base_b.num_named_barrier, 0
	.set _ZN9rocsparseL29bsrmmnt_small_blockdim_kernelILj64ELj32ELj2EiiffffEEv20rocsparse_direction_T3_S2_llNS_24const_host_device_scalarIT7_EEPKT2_PKS2_PKT4_PKT5_llS5_PT6_ll16rocsparse_order_21rocsparse_index_base_b.private_seg_size, 0
	.set _ZN9rocsparseL29bsrmmnt_small_blockdim_kernelILj64ELj32ELj2EiiffffEEv20rocsparse_direction_T3_S2_llNS_24const_host_device_scalarIT7_EEPKT2_PKS2_PKT4_PKT5_llS5_PT6_ll16rocsparse_order_21rocsparse_index_base_b.uses_vcc, 1
	.set _ZN9rocsparseL29bsrmmnt_small_blockdim_kernelILj64ELj32ELj2EiiffffEEv20rocsparse_direction_T3_S2_llNS_24const_host_device_scalarIT7_EEPKT2_PKS2_PKT4_PKT5_llS5_PT6_ll16rocsparse_order_21rocsparse_index_base_b.uses_flat_scratch, 0
	.set _ZN9rocsparseL29bsrmmnt_small_blockdim_kernelILj64ELj32ELj2EiiffffEEv20rocsparse_direction_T3_S2_llNS_24const_host_device_scalarIT7_EEPKT2_PKS2_PKT4_PKT5_llS5_PT6_ll16rocsparse_order_21rocsparse_index_base_b.has_dyn_sized_stack, 0
	.set _ZN9rocsparseL29bsrmmnt_small_blockdim_kernelILj64ELj32ELj2EiiffffEEv20rocsparse_direction_T3_S2_llNS_24const_host_device_scalarIT7_EEPKT2_PKS2_PKT4_PKT5_llS5_PT6_ll16rocsparse_order_21rocsparse_index_base_b.has_recursion, 0
	.set _ZN9rocsparseL29bsrmmnt_small_blockdim_kernelILj64ELj32ELj2EiiffffEEv20rocsparse_direction_T3_S2_llNS_24const_host_device_scalarIT7_EEPKT2_PKS2_PKT4_PKT5_llS5_PT6_ll16rocsparse_order_21rocsparse_index_base_b.has_indirect_call, 0
	.section	.AMDGPU.csdata,"",@progbits
; Kernel info:
; codeLenInByte = 1264
; TotalNumSgprs: 28
; NumVgprs: 30
; ScratchSize: 0
; MemoryBound: 0
; FloatMode: 240
; IeeeMode: 1
; LDSByteSize: 1024 bytes/workgroup (compile time only)
; SGPRBlocks: 0
; VGPRBlocks: 1
; NumSGPRsForWavesPerEU: 28
; NumVGPRsForWavesPerEU: 30
; NamedBarCnt: 0
; Occupancy: 16
; WaveLimiterHint : 0
; COMPUTE_PGM_RSRC2:SCRATCH_EN: 0
; COMPUTE_PGM_RSRC2:USER_SGPR: 2
; COMPUTE_PGM_RSRC2:TRAP_HANDLER: 0
; COMPUTE_PGM_RSRC2:TGID_X_EN: 1
; COMPUTE_PGM_RSRC2:TGID_Y_EN: 0
; COMPUTE_PGM_RSRC2:TGID_Z_EN: 0
; COMPUTE_PGM_RSRC2:TIDIG_COMP_CNT: 0
	.section	.text._ZN9rocsparseL29bsrmmnt_small_blockdim_kernelILj64ELj64ELj2EiiffffEEv20rocsparse_direction_T3_S2_llNS_24const_host_device_scalarIT7_EEPKT2_PKS2_PKT4_PKT5_llS5_PT6_ll16rocsparse_order_21rocsparse_index_base_b,"axG",@progbits,_ZN9rocsparseL29bsrmmnt_small_blockdim_kernelILj64ELj64ELj2EiiffffEEv20rocsparse_direction_T3_S2_llNS_24const_host_device_scalarIT7_EEPKT2_PKS2_PKT4_PKT5_llS5_PT6_ll16rocsparse_order_21rocsparse_index_base_b,comdat
	.globl	_ZN9rocsparseL29bsrmmnt_small_blockdim_kernelILj64ELj64ELj2EiiffffEEv20rocsparse_direction_T3_S2_llNS_24const_host_device_scalarIT7_EEPKT2_PKS2_PKT4_PKT5_llS5_PT6_ll16rocsparse_order_21rocsparse_index_base_b ; -- Begin function _ZN9rocsparseL29bsrmmnt_small_blockdim_kernelILj64ELj64ELj2EiiffffEEv20rocsparse_direction_T3_S2_llNS_24const_host_device_scalarIT7_EEPKT2_PKS2_PKT4_PKT5_llS5_PT6_ll16rocsparse_order_21rocsparse_index_base_b
	.p2align	8
	.type	_ZN9rocsparseL29bsrmmnt_small_blockdim_kernelILj64ELj64ELj2EiiffffEEv20rocsparse_direction_T3_S2_llNS_24const_host_device_scalarIT7_EEPKT2_PKS2_PKT4_PKT5_llS5_PT6_ll16rocsparse_order_21rocsparse_index_base_b,@function
_ZN9rocsparseL29bsrmmnt_small_blockdim_kernelILj64ELj64ELj2EiiffffEEv20rocsparse_direction_T3_S2_llNS_24const_host_device_scalarIT7_EEPKT2_PKS2_PKT4_PKT5_llS5_PT6_ll16rocsparse_order_21rocsparse_index_base_b: ; @_ZN9rocsparseL29bsrmmnt_small_blockdim_kernelILj64ELj64ELj2EiiffffEEv20rocsparse_direction_T3_S2_llNS_24const_host_device_scalarIT7_EEPKT2_PKS2_PKT4_PKT5_llS5_PT6_ll16rocsparse_order_21rocsparse_index_base_b
; %bb.0:
	s_clause 0x2
	s_load_b96 s[16:18], s[0:1], 0x78
	s_load_b64 s[2:3], s[0:1], 0x20
	s_load_b64 s[24:25], s[0:1], 0x58
	s_wait_kmcnt 0x0
	s_bitcmp1_b32 s18, 0
	s_cselect_b32 s4, -1, 0
	s_delay_alu instid0(SALU_CYCLE_1)
	s_and_b32 vcc_lo, exec_lo, s4
	s_xor_b32 s4, s4, -1
	s_cbranch_vccnz .LBB24_2
; %bb.1:
	s_load_b32 s2, s[2:3], 0x0
.LBB24_2:
	s_and_not1_b32 vcc_lo, exec_lo, s4
	s_cbranch_vccnz .LBB24_4
; %bb.3:
	s_load_b32 s24, s[24:25], 0x0
.LBB24_4:
	s_wait_kmcnt 0x0
	s_cmp_eq_f32 s2, 0
	s_cselect_b32 s3, -1, 0
	s_cmp_eq_f32 s24, 1.0
	s_cselect_b32 s4, -1, 0
	s_delay_alu instid0(SALU_CYCLE_1) | instskip(NEXT) | instid1(SALU_CYCLE_1)
	s_and_b32 s3, s3, s4
	s_and_b32 vcc_lo, exec_lo, s3
	s_cbranch_vccnz .LBB24_30
; %bb.5:
	s_clause 0x1
	s_load_b32 s3, s[0:1], 0x94
	s_load_b96 s[20:22], s[0:1], 0x0
	s_bfe_u32 s4, ttmp6, 0x4000c
	s_and_b32 s5, ttmp6, 15
	s_add_co_i32 s4, s4, 1
	s_getreg_b32 s6, hwreg(HW_REG_IB_STS2, 6, 4)
	s_mul_i32 s4, ttmp9, s4
	s_delay_alu instid0(SALU_CYCLE_1) | instskip(SKIP_4) | instid1(SALU_CYCLE_1)
	s_add_co_i32 s5, s5, s4
	s_wait_kmcnt 0x0
	s_and_b32 s3, s3, 0xffff
	s_cmp_eq_u32 s6, 0
	s_cselect_b32 s4, ttmp9, s5
	v_mad_u32 v1, s4, s3, v0
	s_mov_b32 s3, exec_lo
	s_delay_alu instid0(VALU_DEP_1) | instskip(NEXT) | instid1(VALU_DEP_1)
	v_lshrrev_b32_e32 v2, 7, v1
	v_cmpx_gt_i32_e64 s21, v2
	s_cbranch_execz .LBB24_30
; %bb.6:
	s_cmp_lt_i32 s22, 1
	s_cbranch_scc1 .LBB24_30
; %bb.7:
	s_load_b256 s[4:11], s[0:1], 0x28
	v_dual_mov_b32 v3, 0 :: v_dual_lshlrev_b32 v2, 2, v2
	s_load_b128 s[12:15], s[0:1], 0x60
	v_bfe_u32 v8, v1, 6, 1
	s_cmp_eq_u32 s20, 0
	v_mul_u32_u24_e32 v10, 12, v0
	s_cselect_b32 vcc_lo, -1, 0
	s_cmp_neq_f32 s24, 0
	v_dual_lshlrev_b32 v9, 1, v8 :: v_dual_bitop2_b32 v14, 2, v8 bitop3:0x54
	s_cselect_b32 s3, -1, 0
	s_cmp_lg_u32 s16, 1
	s_delay_alu instid0(VALU_DEP_1) | instskip(NEXT) | instid1(VALU_DEP_1)
	v_dual_cndmask_b32 v11, v8, v9, vcc_lo :: v_dual_bitop2_b32 v15, 1, v9 bitop3:0x54
	v_cndmask_b32_e32 v14, v14, v15, vcc_lo
	s_wait_kmcnt 0x0
	global_load_b64 v[6:7], v2, s[4:5]
	s_wait_xcnt 0x0
	v_lshrrev_b32_e32 v2, 6, v1
	s_load_b64 s[4:5], s[0:1], 0x48
	v_lshl_or_b32 v1, v0, 2, 0x300
	s_delay_alu instid0(VALU_DEP_2) | instskip(SKIP_1) | instid1(VALU_DEP_1)
	v_mul_u64_e32 v[4:5], s[14:15], v[2:3]
	v_lshlrev_b32_e32 v2, 2, v2
	v_add_nc_u64_e32 v[2:3], s[12:13], v[2:3]
	s_delay_alu instid0(VALU_DEP_3)
	v_lshl_add_u64 v[4:5], v[4:5], 2, s[12:13]
	s_mov_b32 s12, 0
	s_cselect_b32 s13, -1, 0
	s_wait_loadcnt 0x0
	v_subrev_nc_u32_e32 v12, s17, v6
	v_subrev_nc_u32_e32 v13, s17, v7
	s_wait_xcnt 0x0
	v_cmp_lt_i32_e64 s0, v6, v7
	s_branch .LBB24_9
.LBB24_8:                               ;   in Loop: Header=BB24_9 Depth=1
	s_wait_xcnt 0x0
	s_or_b32 exec_lo, exec_lo, s1
	s_add_co_i32 s12, s12, 64
	s_delay_alu instid0(SALU_CYCLE_1)
	s_cmp_lt_i32 s12, s22
	s_cbranch_scc0 .LBB24_30
.LBB24_9:                               ; =>This Loop Header: Depth=1
                                        ;     Child Loop BB24_12 Depth 2
                                        ;       Child Loop BB24_16 Depth 3
	v_dual_mov_b32 v15, 0 :: v_dual_bitop2_b32 v6, s12, v0 bitop3:0x54
	s_delay_alu instid0(VALU_DEP_1) | instskip(NEXT) | instid1(VALU_DEP_3)
	v_ashrrev_i32_e32 v7, 31, v6
	s_and_saveexec_b32 s16, s0
	s_cbranch_execz .LBB24_18
; %bb.10:                               ;   in Loop: Header=BB24_9 Depth=1
	s_delay_alu instid0(VALU_DEP_1)
	v_lshl_add_u64 v[8:9], v[6:7], 2, s[10:11]
	v_dual_mov_b32 v15, 0 :: v_dual_mov_b32 v16, v12
	s_mov_b32 s18, 0
	v_cmp_gt_i32_e32 vcc_lo, s22, v6
	s_branch .LBB24_12
.LBB24_11:                              ;   in Loop: Header=BB24_12 Depth=2
	s_or_b32 exec_lo, exec_lo, s1
	v_add_nc_u32_e32 v16, 64, v16
	s_delay_alu instid0(VALU_DEP_1) | instskip(SKIP_1) | instid1(SALU_CYCLE_1)
	v_cmp_ge_i32_e64 s1, v16, v13
	s_or_b32 s18, s1, s18
	s_and_not1_b32 exec_lo, exec_lo, s18
	s_cbranch_execz .LBB24_17
.LBB24_12:                              ;   Parent Loop BB24_9 Depth=1
                                        ; =>  This Loop Header: Depth=2
                                        ;       Child Loop BB24_16 Depth 3
	s_delay_alu instid0(VALU_DEP_2) | instskip(SKIP_2) | instid1(VALU_DEP_2)
	v_dual_mov_b32 v19, 0 :: v_dual_add_nc_u32 v20, v16, v0
	v_dual_mov_b32 v17, 0 :: v_dual_mov_b32 v18, 0
	s_mov_b32 s19, exec_lo
	v_cmpx_lt_i32_e64 v20, v13
	s_cbranch_execz .LBB24_14
; %bb.13:                               ;   in Loop: Header=BB24_12 Depth=2
	global_load_b32 v19, v20, s[6:7] scale_offset
	s_wait_loadcnt 0x0
	v_subrev_nc_u32_e32 v19, s17, v19
	s_delay_alu instid0(VALU_DEP_1) | instskip(SKIP_1) | instid1(VALU_DEP_1)
	v_dual_lshlrev_b32 v17, 2, v20 :: v_dual_lshlrev_b32 v19, 1, v19
	s_wait_xcnt 0x0
	v_or_b32_e32 v20, v17, v11
	v_or_b32_e32 v21, v17, v14
	s_clause 0x1
	global_load_b32 v17, v20, s[8:9] scale_offset
	global_load_b32 v18, v21, s[8:9] scale_offset
.LBB24_14:                              ;   in Loop: Header=BB24_12 Depth=2
	s_wait_xcnt 0x0
	s_or_b32 exec_lo, exec_lo, s19
	ds_store_b32 v1, v19
	s_wait_loadcnt 0x0
	ds_store_2addr_b32 v10, v17, v18 offset1:1
	s_wait_dscnt 0x0
	s_barrier_signal -1
	s_barrier_wait -1
	s_and_saveexec_b32 s1, vcc_lo
	s_cbranch_execz .LBB24_11
; %bb.15:                               ;   in Loop: Header=BB24_12 Depth=2
	v_mov_b32_e32 v17, 0
	s_mov_b32 s19, 0
.LBB24_16:                              ;   Parent Loop BB24_9 Depth=1
                                        ;     Parent Loop BB24_12 Depth=2
                                        ; =>    This Inner Loop Header: Depth=3
	s_delay_alu instid0(SALU_CYCLE_1) | instskip(SKIP_1) | instid1(SALU_CYCLE_1)
	v_add_nc_u32_e64 v18, 0x300, s19
	s_add_co_i32 s19, s19, 8
	s_cmp_lg_u32 s19, 0x100
	ds_load_b64 v[18:19], v18
	s_wait_dscnt 0x0
	v_dual_mov_b32 v20, v18 :: v_dual_ashrrev_i32 v21, 31, v18
	v_dual_add_nc_u32 v22, 1, v18 :: v_dual_ashrrev_i32 v25, 31, v19
	v_mov_b32_e32 v24, v19
	s_wait_kmcnt 0x0
	s_delay_alu instid0(VALU_DEP_3) | instskip(NEXT) | instid1(VALU_DEP_3)
	v_mul_u64_e32 v[20:21], s[4:5], v[20:21]
	v_ashrrev_i32_e32 v23, 31, v22
	s_delay_alu instid0(VALU_DEP_3) | instskip(NEXT) | instid1(VALU_DEP_2)
	v_mul_u64_e32 v[24:25], s[4:5], v[24:25]
	v_mul_u64_e32 v[22:23], s[4:5], v[22:23]
	s_delay_alu instid0(VALU_DEP_4)
	v_lshl_add_u64 v[20:21], v[20:21], 2, v[8:9]
	global_load_b32 v26, v[20:21], off
	s_wait_xcnt 0x0
	v_lshl_add_u64 v[20:21], v[22:23], 2, v[8:9]
	v_lshl_add_u64 v[22:23], v[24:25], 2, v[8:9]
	global_load_b32 v24, v[20:21], off
	v_add_nc_u32_e32 v18, 1, v19
	s_delay_alu instid0(VALU_DEP_1) | instskip(NEXT) | instid1(VALU_DEP_1)
	v_ashrrev_i32_e32 v19, 31, v18
	v_mul_u64_e32 v[18:19], s[4:5], v[18:19]
	s_delay_alu instid0(VALU_DEP_1)
	v_lshl_add_u64 v[18:19], v[18:19], 2, v[8:9]
	s_clause 0x1
	global_load_b32 v25, v[22:23], off
	global_load_b32 v27, v[18:19], off
	s_wait_xcnt 0x0
	ds_load_b64 v[18:19], v17
	ds_load_2addr_b32 v[20:21], v17 offset0:3 offset1:4
	s_wait_loadcnt_dscnt 0x301
	v_dual_add_nc_u32 v17, 24, v17 :: v_dual_fmac_f32 v15, v18, v26
	s_wait_loadcnt 0x2
	s_delay_alu instid0(VALU_DEP_1) | instskip(SKIP_1) | instid1(VALU_DEP_1)
	v_fmac_f32_e32 v15, v19, v24
	s_wait_loadcnt_dscnt 0x100
	v_fmac_f32_e32 v15, v20, v25
	s_wait_loadcnt 0x0
	s_delay_alu instid0(VALU_DEP_1)
	v_fmac_f32_e32 v15, v21, v27
	s_cbranch_scc1 .LBB24_16
	s_branch .LBB24_11
.LBB24_17:                              ;   in Loop: Header=BB24_9 Depth=1
	s_or_b32 exec_lo, exec_lo, s18
.LBB24_18:                              ;   in Loop: Header=BB24_9 Depth=1
	s_delay_alu instid0(SALU_CYCLE_1) | instskip(NEXT) | instid1(SALU_CYCLE_1)
	s_or_b32 exec_lo, exec_lo, s16
	s_mov_b32 s1, exec_lo
	v_cmpx_gt_i32_e64 s22, v6
	s_cbranch_execz .LBB24_8
; %bb.19:                               ;   in Loop: Header=BB24_9 Depth=1
	s_and_b32 vcc_lo, exec_lo, s3
	s_cbranch_vccz .LBB24_25
; %bb.20:                               ;   in Loop: Header=BB24_9 Depth=1
	s_and_b32 vcc_lo, exec_lo, s13
	s_mov_b32 s16, -1
	s_cbranch_vccz .LBB24_22
; %bb.21:                               ;   in Loop: Header=BB24_9 Depth=1
	v_lshl_add_u64 v[8:9], v[6:7], 2, v[4:5]
	v_mul_f32_e32 v17, s2, v15
	s_mov_b32 s16, 0
	global_load_b32 v16, v[8:9], off
	s_wait_loadcnt 0x0
	v_fmac_f32_e32 v17, s24, v16
	global_store_b32 v[8:9], v17, off
.LBB24_22:                              ;   in Loop: Header=BB24_9 Depth=1
	s_and_not1_b32 vcc_lo, exec_lo, s16
	s_cbranch_vccnz .LBB24_24
; %bb.23:                               ;   in Loop: Header=BB24_9 Depth=1
	s_wait_xcnt 0x0
	v_mul_u64_e32 v[8:9], s[14:15], v[6:7]
	v_mul_f32_e32 v17, s2, v15
	s_delay_alu instid0(VALU_DEP_2)
	v_lshl_add_u64 v[8:9], v[8:9], 2, v[2:3]
	global_load_b32 v16, v[8:9], off
	s_wait_loadcnt 0x0
	v_fmac_f32_e32 v17, s24, v16
	global_store_b32 v[8:9], v17, off
.LBB24_24:                              ;   in Loop: Header=BB24_9 Depth=1
	s_cbranch_execnz .LBB24_8
	s_branch .LBB24_26
.LBB24_25:                              ;   in Loop: Header=BB24_9 Depth=1
.LBB24_26:                              ;   in Loop: Header=BB24_9 Depth=1
	s_wait_xcnt 0x0
	v_mul_f32_e32 v8, s2, v15
	s_and_b32 vcc_lo, exec_lo, s13
	s_mov_b32 s16, -1
	s_cbranch_vccz .LBB24_28
; %bb.27:                               ;   in Loop: Header=BB24_9 Depth=1
	v_lshl_add_u64 v[16:17], v[6:7], 2, v[4:5]
	s_mov_b32 s16, 0
	global_store_b32 v[16:17], v8, off
.LBB24_28:                              ;   in Loop: Header=BB24_9 Depth=1
	s_and_not1_b32 vcc_lo, exec_lo, s16
	s_cbranch_vccnz .LBB24_8
; %bb.29:                               ;   in Loop: Header=BB24_9 Depth=1
	v_mul_u64_e32 v[6:7], s[14:15], v[6:7]
	s_delay_alu instid0(VALU_DEP_1)
	v_lshl_add_u64 v[6:7], v[6:7], 2, v[2:3]
	global_store_b32 v[6:7], v8, off
	s_branch .LBB24_8
.LBB24_30:
	s_endpgm
	.section	.rodata,"a",@progbits
	.p2align	6, 0x0
	.amdhsa_kernel _ZN9rocsparseL29bsrmmnt_small_blockdim_kernelILj64ELj64ELj2EiiffffEEv20rocsparse_direction_T3_S2_llNS_24const_host_device_scalarIT7_EEPKT2_PKS2_PKT4_PKT5_llS5_PT6_ll16rocsparse_order_21rocsparse_index_base_b
		.amdhsa_group_segment_fixed_size 1024
		.amdhsa_private_segment_fixed_size 0
		.amdhsa_kernarg_size 392
		.amdhsa_user_sgpr_count 2
		.amdhsa_user_sgpr_dispatch_ptr 0
		.amdhsa_user_sgpr_queue_ptr 0
		.amdhsa_user_sgpr_kernarg_segment_ptr 1
		.amdhsa_user_sgpr_dispatch_id 0
		.amdhsa_user_sgpr_kernarg_preload_length 0
		.amdhsa_user_sgpr_kernarg_preload_offset 0
		.amdhsa_user_sgpr_private_segment_size 0
		.amdhsa_wavefront_size32 1
		.amdhsa_uses_dynamic_stack 0
		.amdhsa_enable_private_segment 0
		.amdhsa_system_sgpr_workgroup_id_x 1
		.amdhsa_system_sgpr_workgroup_id_y 0
		.amdhsa_system_sgpr_workgroup_id_z 0
		.amdhsa_system_sgpr_workgroup_info 0
		.amdhsa_system_vgpr_workitem_id 0
		.amdhsa_next_free_vgpr 28
		.amdhsa_next_free_sgpr 26
		.amdhsa_named_barrier_count 0
		.amdhsa_reserve_vcc 1
		.amdhsa_float_round_mode_32 0
		.amdhsa_float_round_mode_16_64 0
		.amdhsa_float_denorm_mode_32 3
		.amdhsa_float_denorm_mode_16_64 3
		.amdhsa_fp16_overflow 0
		.amdhsa_memory_ordered 1
		.amdhsa_forward_progress 1
		.amdhsa_inst_pref_size 10
		.amdhsa_round_robin_scheduling 0
		.amdhsa_exception_fp_ieee_invalid_op 0
		.amdhsa_exception_fp_denorm_src 0
		.amdhsa_exception_fp_ieee_div_zero 0
		.amdhsa_exception_fp_ieee_overflow 0
		.amdhsa_exception_fp_ieee_underflow 0
		.amdhsa_exception_fp_ieee_inexact 0
		.amdhsa_exception_int_div_zero 0
	.end_amdhsa_kernel
	.section	.text._ZN9rocsparseL29bsrmmnt_small_blockdim_kernelILj64ELj64ELj2EiiffffEEv20rocsparse_direction_T3_S2_llNS_24const_host_device_scalarIT7_EEPKT2_PKS2_PKT4_PKT5_llS5_PT6_ll16rocsparse_order_21rocsparse_index_base_b,"axG",@progbits,_ZN9rocsparseL29bsrmmnt_small_blockdim_kernelILj64ELj64ELj2EiiffffEEv20rocsparse_direction_T3_S2_llNS_24const_host_device_scalarIT7_EEPKT2_PKS2_PKT4_PKT5_llS5_PT6_ll16rocsparse_order_21rocsparse_index_base_b,comdat
.Lfunc_end24:
	.size	_ZN9rocsparseL29bsrmmnt_small_blockdim_kernelILj64ELj64ELj2EiiffffEEv20rocsparse_direction_T3_S2_llNS_24const_host_device_scalarIT7_EEPKT2_PKS2_PKT4_PKT5_llS5_PT6_ll16rocsparse_order_21rocsparse_index_base_b, .Lfunc_end24-_ZN9rocsparseL29bsrmmnt_small_blockdim_kernelILj64ELj64ELj2EiiffffEEv20rocsparse_direction_T3_S2_llNS_24const_host_device_scalarIT7_EEPKT2_PKS2_PKT4_PKT5_llS5_PT6_ll16rocsparse_order_21rocsparse_index_base_b
                                        ; -- End function
	.set _ZN9rocsparseL29bsrmmnt_small_blockdim_kernelILj64ELj64ELj2EiiffffEEv20rocsparse_direction_T3_S2_llNS_24const_host_device_scalarIT7_EEPKT2_PKS2_PKT4_PKT5_llS5_PT6_ll16rocsparse_order_21rocsparse_index_base_b.num_vgpr, 28
	.set _ZN9rocsparseL29bsrmmnt_small_blockdim_kernelILj64ELj64ELj2EiiffffEEv20rocsparse_direction_T3_S2_llNS_24const_host_device_scalarIT7_EEPKT2_PKS2_PKT4_PKT5_llS5_PT6_ll16rocsparse_order_21rocsparse_index_base_b.num_agpr, 0
	.set _ZN9rocsparseL29bsrmmnt_small_blockdim_kernelILj64ELj64ELj2EiiffffEEv20rocsparse_direction_T3_S2_llNS_24const_host_device_scalarIT7_EEPKT2_PKS2_PKT4_PKT5_llS5_PT6_ll16rocsparse_order_21rocsparse_index_base_b.numbered_sgpr, 26
	.set _ZN9rocsparseL29bsrmmnt_small_blockdim_kernelILj64ELj64ELj2EiiffffEEv20rocsparse_direction_T3_S2_llNS_24const_host_device_scalarIT7_EEPKT2_PKS2_PKT4_PKT5_llS5_PT6_ll16rocsparse_order_21rocsparse_index_base_b.num_named_barrier, 0
	.set _ZN9rocsparseL29bsrmmnt_small_blockdim_kernelILj64ELj64ELj2EiiffffEEv20rocsparse_direction_T3_S2_llNS_24const_host_device_scalarIT7_EEPKT2_PKS2_PKT4_PKT5_llS5_PT6_ll16rocsparse_order_21rocsparse_index_base_b.private_seg_size, 0
	.set _ZN9rocsparseL29bsrmmnt_small_blockdim_kernelILj64ELj64ELj2EiiffffEEv20rocsparse_direction_T3_S2_llNS_24const_host_device_scalarIT7_EEPKT2_PKS2_PKT4_PKT5_llS5_PT6_ll16rocsparse_order_21rocsparse_index_base_b.uses_vcc, 1
	.set _ZN9rocsparseL29bsrmmnt_small_blockdim_kernelILj64ELj64ELj2EiiffffEEv20rocsparse_direction_T3_S2_llNS_24const_host_device_scalarIT7_EEPKT2_PKS2_PKT4_PKT5_llS5_PT6_ll16rocsparse_order_21rocsparse_index_base_b.uses_flat_scratch, 0
	.set _ZN9rocsparseL29bsrmmnt_small_blockdim_kernelILj64ELj64ELj2EiiffffEEv20rocsparse_direction_T3_S2_llNS_24const_host_device_scalarIT7_EEPKT2_PKS2_PKT4_PKT5_llS5_PT6_ll16rocsparse_order_21rocsparse_index_base_b.has_dyn_sized_stack, 0
	.set _ZN9rocsparseL29bsrmmnt_small_blockdim_kernelILj64ELj64ELj2EiiffffEEv20rocsparse_direction_T3_S2_llNS_24const_host_device_scalarIT7_EEPKT2_PKS2_PKT4_PKT5_llS5_PT6_ll16rocsparse_order_21rocsparse_index_base_b.has_recursion, 0
	.set _ZN9rocsparseL29bsrmmnt_small_blockdim_kernelILj64ELj64ELj2EiiffffEEv20rocsparse_direction_T3_S2_llNS_24const_host_device_scalarIT7_EEPKT2_PKS2_PKT4_PKT5_llS5_PT6_ll16rocsparse_order_21rocsparse_index_base_b.has_indirect_call, 0
	.section	.AMDGPU.csdata,"",@progbits
; Kernel info:
; codeLenInByte = 1244
; TotalNumSgprs: 28
; NumVgprs: 28
; ScratchSize: 0
; MemoryBound: 0
; FloatMode: 240
; IeeeMode: 1
; LDSByteSize: 1024 bytes/workgroup (compile time only)
; SGPRBlocks: 0
; VGPRBlocks: 1
; NumSGPRsForWavesPerEU: 28
; NumVGPRsForWavesPerEU: 28
; NamedBarCnt: 0
; Occupancy: 16
; WaveLimiterHint : 0
; COMPUTE_PGM_RSRC2:SCRATCH_EN: 0
; COMPUTE_PGM_RSRC2:USER_SGPR: 2
; COMPUTE_PGM_RSRC2:TRAP_HANDLER: 0
; COMPUTE_PGM_RSRC2:TGID_X_EN: 1
; COMPUTE_PGM_RSRC2:TGID_Y_EN: 0
; COMPUTE_PGM_RSRC2:TGID_Z_EN: 0
; COMPUTE_PGM_RSRC2:TIDIG_COMP_CNT: 0
	.section	.text._ZN9rocsparseL29bsrmmnt_small_blockdim_kernelILj64ELj8ELj2EliffffEEv20rocsparse_direction_T3_S2_llNS_24const_host_device_scalarIT7_EEPKT2_PKS2_PKT4_PKT5_llS5_PT6_ll16rocsparse_order_21rocsparse_index_base_b,"axG",@progbits,_ZN9rocsparseL29bsrmmnt_small_blockdim_kernelILj64ELj8ELj2EliffffEEv20rocsparse_direction_T3_S2_llNS_24const_host_device_scalarIT7_EEPKT2_PKS2_PKT4_PKT5_llS5_PT6_ll16rocsparse_order_21rocsparse_index_base_b,comdat
	.globl	_ZN9rocsparseL29bsrmmnt_small_blockdim_kernelILj64ELj8ELj2EliffffEEv20rocsparse_direction_T3_S2_llNS_24const_host_device_scalarIT7_EEPKT2_PKS2_PKT4_PKT5_llS5_PT6_ll16rocsparse_order_21rocsparse_index_base_b ; -- Begin function _ZN9rocsparseL29bsrmmnt_small_blockdim_kernelILj64ELj8ELj2EliffffEEv20rocsparse_direction_T3_S2_llNS_24const_host_device_scalarIT7_EEPKT2_PKS2_PKT4_PKT5_llS5_PT6_ll16rocsparse_order_21rocsparse_index_base_b
	.p2align	8
	.type	_ZN9rocsparseL29bsrmmnt_small_blockdim_kernelILj64ELj8ELj2EliffffEEv20rocsparse_direction_T3_S2_llNS_24const_host_device_scalarIT7_EEPKT2_PKS2_PKT4_PKT5_llS5_PT6_ll16rocsparse_order_21rocsparse_index_base_b,@function
_ZN9rocsparseL29bsrmmnt_small_blockdim_kernelILj64ELj8ELj2EliffffEEv20rocsparse_direction_T3_S2_llNS_24const_host_device_scalarIT7_EEPKT2_PKS2_PKT4_PKT5_llS5_PT6_ll16rocsparse_order_21rocsparse_index_base_b: ; @_ZN9rocsparseL29bsrmmnt_small_blockdim_kernelILj64ELj8ELj2EliffffEEv20rocsparse_direction_T3_S2_llNS_24const_host_device_scalarIT7_EEPKT2_PKS2_PKT4_PKT5_llS5_PT6_ll16rocsparse_order_21rocsparse_index_base_b
; %bb.0:
	s_clause 0x2
	s_load_b96 s[16:18], s[0:1], 0x78
	s_load_b64 s[2:3], s[0:1], 0x20
	s_load_b64 s[24:25], s[0:1], 0x58
	s_wait_kmcnt 0x0
	s_bitcmp1_b32 s18, 0
	s_cselect_b32 s4, -1, 0
	s_delay_alu instid0(SALU_CYCLE_1)
	s_and_b32 vcc_lo, exec_lo, s4
	s_xor_b32 s4, s4, -1
	s_cbranch_vccnz .LBB25_2
; %bb.1:
	s_load_b32 s2, s[2:3], 0x0
.LBB25_2:
	s_and_not1_b32 vcc_lo, exec_lo, s4
	s_cbranch_vccnz .LBB25_4
; %bb.3:
	s_load_b32 s24, s[24:25], 0x0
.LBB25_4:
	s_wait_kmcnt 0x0
	s_cmp_eq_f32 s2, 0
	s_cselect_b32 s3, -1, 0
	s_cmp_eq_f32 s24, 1.0
	s_cselect_b32 s4, -1, 0
	s_delay_alu instid0(SALU_CYCLE_1) | instskip(NEXT) | instid1(SALU_CYCLE_1)
	s_and_b32 s3, s3, s4
	s_and_b32 vcc_lo, exec_lo, s3
	s_cbranch_vccnz .LBB25_30
; %bb.5:
	s_clause 0x1
	s_load_b32 s3, s[0:1], 0x94
	s_load_b96 s[20:22], s[0:1], 0x0
	s_bfe_u32 s4, ttmp6, 0x4000c
	s_and_b32 s5, ttmp6, 15
	s_add_co_i32 s4, s4, 1
	s_getreg_b32 s6, hwreg(HW_REG_IB_STS2, 6, 4)
	s_mul_i32 s4, ttmp9, s4
	s_delay_alu instid0(SALU_CYCLE_1) | instskip(SKIP_4) | instid1(SALU_CYCLE_1)
	s_add_co_i32 s5, s5, s4
	s_wait_kmcnt 0x0
	s_and_b32 s3, s3, 0xffff
	s_cmp_eq_u32 s6, 0
	s_cselect_b32 s4, ttmp9, s5
	v_mad_u32 v2, s4, s3, v0
	s_mov_b32 s3, exec_lo
	s_delay_alu instid0(VALU_DEP_1) | instskip(NEXT) | instid1(VALU_DEP_1)
	v_lshrrev_b32_e32 v1, 4, v2
	v_cmpx_gt_i32_e64 s21, v1
	s_cbranch_execz .LBB25_30
; %bb.6:
	s_cmp_lt_i32 s22, 1
	s_cbranch_scc1 .LBB25_30
; %bb.7:
	s_load_b256 s[4:11], s[0:1], 0x28
	v_dual_lshlrev_b32 v1, 3, v1 :: v_dual_lshrrev_b32 v4, 3, v2
	s_load_b128 s[12:15], s[0:1], 0x60
	s_cmp_neq_f32 s24, 0
	s_mov_b32 s19, 0
	s_mov_b32 s18, s17
	v_lshrrev_b32_e32 v3, 3, v0
	s_cselect_b32 s3, -1, 0
	s_cmp_lg_u32 s16, 1
	v_and_b32_e32 v0, 7, v0
	s_cselect_b32 s16, -1, 0
	s_cmp_eq_u32 s20, 0
	v_lshl_or_b32 v20, v3, 5, 0x300
	v_mul_u32_u24_e32 v21, 0x60, v3
	v_mul_u32_u24_e32 v16, 12, v0
	s_delay_alu instid0(VALU_DEP_3)
	v_lshl_or_b32 v22, v0, 2, v20
	s_wait_kmcnt 0x0
	global_load_b128 v[8:11], v1, s[4:5]
	s_wait_xcnt 0x0
	v_mov_b32_e32 v1, 0
	s_load_b64 s[4:5], s[0:1], 0x48
	s_wait_xcnt 0x0
	s_cselect_b32 s1, -1, 0
	v_add_nc_u32_e32 v23, v21, v16
	v_cndmask_b32_e64 v6, 0, 1, s1
	v_dual_mov_b32 v5, v1 :: v_dual_mov_b32 v3, v1
	v_mov_b32_e32 v15, v1
	s_and_b32 s1, s1, exec_lo
	s_delay_alu instid0(VALU_DEP_2) | instskip(SKIP_1) | instid1(VALU_DEP_1)
	v_mul_u64_e32 v[12:13], s[14:15], v[4:5]
	v_bfe_u32 v5, v2, 3, 1
	v_dual_lshlrev_b32 v2, 2, v4 :: v_dual_lshlrev_b32 v4, v6, v5
	s_delay_alu instid0(VALU_DEP_1) | instskip(NEXT) | instid1(VALU_DEP_2)
	v_add_nc_u64_e32 v[2:3], s[12:13], v[2:3]
	v_lshlrev_b32_e32 v14, 2, v4
	s_wait_loadcnt 0x0
	v_sub_nc_u64_e64 v[4:5], v[8:9], s[18:19]
	v_sub_nc_u64_e64 v[6:7], v[10:11], s[18:19]
	v_cmp_lt_i64_e64 s0, v[8:9], v[10:11]
	v_add_nc_u64_e32 v[8:9], s[8:9], v[14:15]
	v_lshl_add_u64 v[10:11], v[12:13], 2, s[12:13]
	s_cselect_b32 s18, 4, 8
	s_mov_b32 s8, s19
	s_branch .LBB25_9
.LBB25_8:                               ;   in Loop: Header=BB25_9 Depth=1
	s_wait_xcnt 0x0
	s_or_b32 exec_lo, exec_lo, s1
	s_add_co_i32 s8, s8, 8
	s_delay_alu instid0(SALU_CYCLE_1)
	s_cmp_lt_i32 s8, s22
	s_cbranch_scc0 .LBB25_30
.LBB25_9:                               ; =>This Loop Header: Depth=1
                                        ;     Child Loop BB25_12 Depth 2
                                        ;       Child Loop BB25_16 Depth 3
	v_dual_mov_b32 v24, 0 :: v_dual_bitop2_b32 v12, s8, v0 bitop3:0x54
	s_delay_alu instid0(VALU_DEP_1)
	v_ashrrev_i32_e32 v13, 31, v12
	s_and_saveexec_b32 s9, s0
	s_cbranch_execz .LBB25_18
; %bb.10:                               ;   in Loop: Header=BB25_9 Depth=1
	v_mov_b64_e32 v[16:17], v[4:5]
	s_delay_alu instid0(VALU_DEP_2)
	v_lshl_add_u64 v[14:15], v[12:13], 2, s[10:11]
	v_mov_b32_e32 v24, 0
	s_mov_b32 s12, 0
	v_cmp_gt_i32_e32 vcc_lo, s22, v12
	s_branch .LBB25_12
.LBB25_11:                              ;   in Loop: Header=BB25_12 Depth=2
	s_or_b32 exec_lo, exec_lo, s1
	v_add_nc_u64_e32 v[16:17], 8, v[16:17]
	s_delay_alu instid0(VALU_DEP_1) | instskip(SKIP_1) | instid1(SALU_CYCLE_1)
	v_cmp_ge_i64_e64 s1, v[16:17], v[6:7]
	s_or_b32 s12, s1, s12
	s_and_not1_b32 exec_lo, exec_lo, s12
	s_cbranch_execz .LBB25_17
.LBB25_12:                              ;   Parent Loop BB25_9 Depth=1
                                        ; =>  This Loop Header: Depth=2
                                        ;       Child Loop BB25_16 Depth 3
	s_delay_alu instid0(VALU_DEP_4) | instskip(SKIP_3) | instid1(VALU_DEP_3)
	v_add_nc_u64_e32 v[18:19], v[16:17], v[0:1]
	v_dual_mov_b32 v27, 0 :: v_dual_mov_b32 v25, 0
	v_mov_b32_e32 v26, 0
	s_mov_b32 s13, exec_lo
	v_cmpx_lt_i64_e64 v[18:19], v[6:7]
	s_cbranch_execz .LBB25_14
; %bb.13:                               ;   in Loop: Header=BB25_12 Depth=2
	v_lshl_add_u64 v[26:27], v[18:19], 2, s[6:7]
	v_lshl_add_u64 v[18:19], v[18:19], 4, v[8:9]
	global_load_b32 v27, v[26:27], off
	v_add_nc_u64_e32 v[28:29], s[18:19], v[18:19]
	s_clause 0x1
	global_load_b32 v25, v[18:19], off
	global_load_b32 v26, v[28:29], off
	s_wait_loadcnt 0x2
	s_wait_xcnt 0x1
	v_subrev_nc_u32_e32 v18, s17, v27
	s_delay_alu instid0(VALU_DEP_1)
	v_lshlrev_b32_e32 v27, 1, v18
.LBB25_14:                              ;   in Loop: Header=BB25_12 Depth=2
	s_wait_xcnt 0x0
	s_or_b32 exec_lo, exec_lo, s13
	ds_store_b32 v22, v27
	s_wait_loadcnt 0x0
	ds_store_2addr_b32 v23, v25, v26 offset1:1
	s_wait_dscnt 0x0
	s_barrier_signal -1
	s_barrier_wait -1
	s_and_saveexec_b32 s1, vcc_lo
	s_cbranch_execz .LBB25_11
; %bb.15:                               ;   in Loop: Header=BB25_12 Depth=2
	v_mov_b32_e32 v18, v21
	s_mov_b32 s13, 0
.LBB25_16:                              ;   Parent Loop BB25_9 Depth=1
                                        ;     Parent Loop BB25_12 Depth=2
                                        ; =>    This Inner Loop Header: Depth=3
	s_delay_alu instid0(SALU_CYCLE_1) | instskip(SKIP_1) | instid1(SALU_CYCLE_1)
	v_add_nc_u32_e32 v19, s13, v20
	s_add_co_i32 s13, s13, 8
	s_cmp_lg_u32 s13, 32
	ds_load_b64 v[26:27], v19
	s_wait_dscnt 0x0
	v_dual_mov_b32 v28, v26 :: v_dual_ashrrev_i32 v29, 31, v26
	v_dual_add_nc_u32 v30, 1, v26 :: v_dual_mov_b32 v32, v27
	v_dual_add_nc_u32 v26, 1, v27 :: v_dual_ashrrev_i32 v33, 31, v27
	s_wait_kmcnt 0x0
	s_delay_alu instid0(VALU_DEP_3) | instskip(NEXT) | instid1(VALU_DEP_3)
	v_mul_u64_e32 v[28:29], s[4:5], v[28:29]
	v_ashrrev_i32_e32 v31, 31, v30
	s_delay_alu instid0(VALU_DEP_3) | instskip(NEXT) | instid1(VALU_DEP_2)
	v_mul_u64_e32 v[32:33], s[4:5], v[32:33]
	v_mul_u64_e32 v[30:31], s[4:5], v[30:31]
	s_delay_alu instid0(VALU_DEP_4)
	v_lshl_add_u64 v[28:29], v[28:29], 2, v[14:15]
	global_load_b32 v19, v[28:29], off
	v_ashrrev_i32_e32 v27, 31, v26
	s_wait_xcnt 0x0
	v_lshl_add_u64 v[28:29], v[30:31], 2, v[14:15]
	v_lshl_add_u64 v[30:31], v[32:33], 2, v[14:15]
	s_delay_alu instid0(VALU_DEP_3)
	v_mul_u64_e32 v[26:27], s[4:5], v[26:27]
	global_load_b32 v25, v[28:29], off
	v_lshl_add_u64 v[26:27], v[26:27], 2, v[14:15]
	s_clause 0x1
	global_load_b32 v32, v[30:31], off
	global_load_b32 v33, v[26:27], off
	s_wait_xcnt 0x0
	ds_load_b64 v[26:27], v18
	ds_load_2addr_b32 v[28:29], v18 offset0:3 offset1:4
	s_wait_loadcnt_dscnt 0x301
	v_dual_add_nc_u32 v18, 24, v18 :: v_dual_fmac_f32 v24, v26, v19
	s_wait_loadcnt 0x2
	s_delay_alu instid0(VALU_DEP_1) | instskip(SKIP_1) | instid1(VALU_DEP_1)
	v_fmac_f32_e32 v24, v27, v25
	s_wait_loadcnt_dscnt 0x100
	v_fmac_f32_e32 v24, v28, v32
	s_wait_loadcnt 0x0
	s_delay_alu instid0(VALU_DEP_1)
	v_fmac_f32_e32 v24, v29, v33
	s_cbranch_scc1 .LBB25_16
	s_branch .LBB25_11
.LBB25_17:                              ;   in Loop: Header=BB25_9 Depth=1
	s_or_b32 exec_lo, exec_lo, s12
.LBB25_18:                              ;   in Loop: Header=BB25_9 Depth=1
	s_delay_alu instid0(SALU_CYCLE_1) | instskip(NEXT) | instid1(SALU_CYCLE_1)
	s_or_b32 exec_lo, exec_lo, s9
	s_mov_b32 s1, exec_lo
	v_cmpx_gt_i32_e64 s22, v12
	s_cbranch_execz .LBB25_8
; %bb.19:                               ;   in Loop: Header=BB25_9 Depth=1
	s_and_b32 vcc_lo, exec_lo, s3
	s_cbranch_vccz .LBB25_25
; %bb.20:                               ;   in Loop: Header=BB25_9 Depth=1
	s_and_b32 vcc_lo, exec_lo, s16
	s_mov_b32 s9, -1
	s_cbranch_vccz .LBB25_22
; %bb.21:                               ;   in Loop: Header=BB25_9 Depth=1
	v_lshl_add_u64 v[14:15], v[12:13], 2, v[10:11]
	v_mul_f32_e32 v17, s2, v24
	s_mov_b32 s9, 0
	global_load_b32 v16, v[14:15], off
	s_wait_loadcnt 0x0
	v_fmac_f32_e32 v17, s24, v16
	global_store_b32 v[14:15], v17, off
.LBB25_22:                              ;   in Loop: Header=BB25_9 Depth=1
	s_and_not1_b32 vcc_lo, exec_lo, s9
	s_cbranch_vccnz .LBB25_24
; %bb.23:                               ;   in Loop: Header=BB25_9 Depth=1
	s_wait_xcnt 0x0
	v_mul_u64_e32 v[14:15], s[14:15], v[12:13]
	v_mul_f32_e32 v17, s2, v24
	s_delay_alu instid0(VALU_DEP_2)
	v_lshl_add_u64 v[14:15], v[14:15], 2, v[2:3]
	global_load_b32 v16, v[14:15], off
	s_wait_loadcnt 0x0
	v_fmac_f32_e32 v17, s24, v16
	global_store_b32 v[14:15], v17, off
.LBB25_24:                              ;   in Loop: Header=BB25_9 Depth=1
	s_cbranch_execnz .LBB25_8
	s_branch .LBB25_26
.LBB25_25:                              ;   in Loop: Header=BB25_9 Depth=1
.LBB25_26:                              ;   in Loop: Header=BB25_9 Depth=1
	s_wait_xcnt 0x0
	v_mul_f32_e32 v14, s2, v24
	s_and_b32 vcc_lo, exec_lo, s16
	s_mov_b32 s9, -1
	s_cbranch_vccz .LBB25_28
; %bb.27:                               ;   in Loop: Header=BB25_9 Depth=1
	v_lshl_add_u64 v[16:17], v[12:13], 2, v[10:11]
	s_mov_b32 s9, 0
	global_store_b32 v[16:17], v14, off
.LBB25_28:                              ;   in Loop: Header=BB25_9 Depth=1
	s_and_not1_b32 vcc_lo, exec_lo, s9
	s_cbranch_vccnz .LBB25_8
; %bb.29:                               ;   in Loop: Header=BB25_9 Depth=1
	v_mul_u64_e32 v[12:13], s[14:15], v[12:13]
	s_delay_alu instid0(VALU_DEP_1)
	v_lshl_add_u64 v[12:13], v[12:13], 2, v[2:3]
	global_store_b32 v[12:13], v14, off
	s_branch .LBB25_8
.LBB25_30:
	s_endpgm
	.section	.rodata,"a",@progbits
	.p2align	6, 0x0
	.amdhsa_kernel _ZN9rocsparseL29bsrmmnt_small_blockdim_kernelILj64ELj8ELj2EliffffEEv20rocsparse_direction_T3_S2_llNS_24const_host_device_scalarIT7_EEPKT2_PKS2_PKT4_PKT5_llS5_PT6_ll16rocsparse_order_21rocsparse_index_base_b
		.amdhsa_group_segment_fixed_size 1024
		.amdhsa_private_segment_fixed_size 0
		.amdhsa_kernarg_size 392
		.amdhsa_user_sgpr_count 2
		.amdhsa_user_sgpr_dispatch_ptr 0
		.amdhsa_user_sgpr_queue_ptr 0
		.amdhsa_user_sgpr_kernarg_segment_ptr 1
		.amdhsa_user_sgpr_dispatch_id 0
		.amdhsa_user_sgpr_kernarg_preload_length 0
		.amdhsa_user_sgpr_kernarg_preload_offset 0
		.amdhsa_user_sgpr_private_segment_size 0
		.amdhsa_wavefront_size32 1
		.amdhsa_uses_dynamic_stack 0
		.amdhsa_enable_private_segment 0
		.amdhsa_system_sgpr_workgroup_id_x 1
		.amdhsa_system_sgpr_workgroup_id_y 0
		.amdhsa_system_sgpr_workgroup_id_z 0
		.amdhsa_system_sgpr_workgroup_info 0
		.amdhsa_system_vgpr_workitem_id 0
		.amdhsa_next_free_vgpr 34
		.amdhsa_next_free_sgpr 26
		.amdhsa_named_barrier_count 0
		.amdhsa_reserve_vcc 1
		.amdhsa_float_round_mode_32 0
		.amdhsa_float_round_mode_16_64 0
		.amdhsa_float_denorm_mode_32 3
		.amdhsa_float_denorm_mode_16_64 3
		.amdhsa_fp16_overflow 0
		.amdhsa_memory_ordered 1
		.amdhsa_forward_progress 1
		.amdhsa_inst_pref_size 11
		.amdhsa_round_robin_scheduling 0
		.amdhsa_exception_fp_ieee_invalid_op 0
		.amdhsa_exception_fp_denorm_src 0
		.amdhsa_exception_fp_ieee_div_zero 0
		.amdhsa_exception_fp_ieee_overflow 0
		.amdhsa_exception_fp_ieee_underflow 0
		.amdhsa_exception_fp_ieee_inexact 0
		.amdhsa_exception_int_div_zero 0
	.end_amdhsa_kernel
	.section	.text._ZN9rocsparseL29bsrmmnt_small_blockdim_kernelILj64ELj8ELj2EliffffEEv20rocsparse_direction_T3_S2_llNS_24const_host_device_scalarIT7_EEPKT2_PKS2_PKT4_PKT5_llS5_PT6_ll16rocsparse_order_21rocsparse_index_base_b,"axG",@progbits,_ZN9rocsparseL29bsrmmnt_small_blockdim_kernelILj64ELj8ELj2EliffffEEv20rocsparse_direction_T3_S2_llNS_24const_host_device_scalarIT7_EEPKT2_PKS2_PKT4_PKT5_llS5_PT6_ll16rocsparse_order_21rocsparse_index_base_b,comdat
.Lfunc_end25:
	.size	_ZN9rocsparseL29bsrmmnt_small_blockdim_kernelILj64ELj8ELj2EliffffEEv20rocsparse_direction_T3_S2_llNS_24const_host_device_scalarIT7_EEPKT2_PKS2_PKT4_PKT5_llS5_PT6_ll16rocsparse_order_21rocsparse_index_base_b, .Lfunc_end25-_ZN9rocsparseL29bsrmmnt_small_blockdim_kernelILj64ELj8ELj2EliffffEEv20rocsparse_direction_T3_S2_llNS_24const_host_device_scalarIT7_EEPKT2_PKS2_PKT4_PKT5_llS5_PT6_ll16rocsparse_order_21rocsparse_index_base_b
                                        ; -- End function
	.set _ZN9rocsparseL29bsrmmnt_small_blockdim_kernelILj64ELj8ELj2EliffffEEv20rocsparse_direction_T3_S2_llNS_24const_host_device_scalarIT7_EEPKT2_PKS2_PKT4_PKT5_llS5_PT6_ll16rocsparse_order_21rocsparse_index_base_b.num_vgpr, 34
	.set _ZN9rocsparseL29bsrmmnt_small_blockdim_kernelILj64ELj8ELj2EliffffEEv20rocsparse_direction_T3_S2_llNS_24const_host_device_scalarIT7_EEPKT2_PKS2_PKT4_PKT5_llS5_PT6_ll16rocsparse_order_21rocsparse_index_base_b.num_agpr, 0
	.set _ZN9rocsparseL29bsrmmnt_small_blockdim_kernelILj64ELj8ELj2EliffffEEv20rocsparse_direction_T3_S2_llNS_24const_host_device_scalarIT7_EEPKT2_PKS2_PKT4_PKT5_llS5_PT6_ll16rocsparse_order_21rocsparse_index_base_b.numbered_sgpr, 26
	.set _ZN9rocsparseL29bsrmmnt_small_blockdim_kernelILj64ELj8ELj2EliffffEEv20rocsparse_direction_T3_S2_llNS_24const_host_device_scalarIT7_EEPKT2_PKS2_PKT4_PKT5_llS5_PT6_ll16rocsparse_order_21rocsparse_index_base_b.num_named_barrier, 0
	.set _ZN9rocsparseL29bsrmmnt_small_blockdim_kernelILj64ELj8ELj2EliffffEEv20rocsparse_direction_T3_S2_llNS_24const_host_device_scalarIT7_EEPKT2_PKS2_PKT4_PKT5_llS5_PT6_ll16rocsparse_order_21rocsparse_index_base_b.private_seg_size, 0
	.set _ZN9rocsparseL29bsrmmnt_small_blockdim_kernelILj64ELj8ELj2EliffffEEv20rocsparse_direction_T3_S2_llNS_24const_host_device_scalarIT7_EEPKT2_PKS2_PKT4_PKT5_llS5_PT6_ll16rocsparse_order_21rocsparse_index_base_b.uses_vcc, 1
	.set _ZN9rocsparseL29bsrmmnt_small_blockdim_kernelILj64ELj8ELj2EliffffEEv20rocsparse_direction_T3_S2_llNS_24const_host_device_scalarIT7_EEPKT2_PKS2_PKT4_PKT5_llS5_PT6_ll16rocsparse_order_21rocsparse_index_base_b.uses_flat_scratch, 0
	.set _ZN9rocsparseL29bsrmmnt_small_blockdim_kernelILj64ELj8ELj2EliffffEEv20rocsparse_direction_T3_S2_llNS_24const_host_device_scalarIT7_EEPKT2_PKS2_PKT4_PKT5_llS5_PT6_ll16rocsparse_order_21rocsparse_index_base_b.has_dyn_sized_stack, 0
	.set _ZN9rocsparseL29bsrmmnt_small_blockdim_kernelILj64ELj8ELj2EliffffEEv20rocsparse_direction_T3_S2_llNS_24const_host_device_scalarIT7_EEPKT2_PKS2_PKT4_PKT5_llS5_PT6_ll16rocsparse_order_21rocsparse_index_base_b.has_recursion, 0
	.set _ZN9rocsparseL29bsrmmnt_small_blockdim_kernelILj64ELj8ELj2EliffffEEv20rocsparse_direction_T3_S2_llNS_24const_host_device_scalarIT7_EEPKT2_PKS2_PKT4_PKT5_llS5_PT6_ll16rocsparse_order_21rocsparse_index_base_b.has_indirect_call, 0
	.section	.AMDGPU.csdata,"",@progbits
; Kernel info:
; codeLenInByte = 1308
; TotalNumSgprs: 28
; NumVgprs: 34
; ScratchSize: 0
; MemoryBound: 0
; FloatMode: 240
; IeeeMode: 1
; LDSByteSize: 1024 bytes/workgroup (compile time only)
; SGPRBlocks: 0
; VGPRBlocks: 2
; NumSGPRsForWavesPerEU: 28
; NumVGPRsForWavesPerEU: 34
; NamedBarCnt: 0
; Occupancy: 16
; WaveLimiterHint : 0
; COMPUTE_PGM_RSRC2:SCRATCH_EN: 0
; COMPUTE_PGM_RSRC2:USER_SGPR: 2
; COMPUTE_PGM_RSRC2:TRAP_HANDLER: 0
; COMPUTE_PGM_RSRC2:TGID_X_EN: 1
; COMPUTE_PGM_RSRC2:TGID_Y_EN: 0
; COMPUTE_PGM_RSRC2:TGID_Z_EN: 0
; COMPUTE_PGM_RSRC2:TIDIG_COMP_CNT: 0
	.section	.text._ZN9rocsparseL29bsrmmnt_small_blockdim_kernelILj64ELj16ELj2EliffffEEv20rocsparse_direction_T3_S2_llNS_24const_host_device_scalarIT7_EEPKT2_PKS2_PKT4_PKT5_llS5_PT6_ll16rocsparse_order_21rocsparse_index_base_b,"axG",@progbits,_ZN9rocsparseL29bsrmmnt_small_blockdim_kernelILj64ELj16ELj2EliffffEEv20rocsparse_direction_T3_S2_llNS_24const_host_device_scalarIT7_EEPKT2_PKS2_PKT4_PKT5_llS5_PT6_ll16rocsparse_order_21rocsparse_index_base_b,comdat
	.globl	_ZN9rocsparseL29bsrmmnt_small_blockdim_kernelILj64ELj16ELj2EliffffEEv20rocsparse_direction_T3_S2_llNS_24const_host_device_scalarIT7_EEPKT2_PKS2_PKT4_PKT5_llS5_PT6_ll16rocsparse_order_21rocsparse_index_base_b ; -- Begin function _ZN9rocsparseL29bsrmmnt_small_blockdim_kernelILj64ELj16ELj2EliffffEEv20rocsparse_direction_T3_S2_llNS_24const_host_device_scalarIT7_EEPKT2_PKS2_PKT4_PKT5_llS5_PT6_ll16rocsparse_order_21rocsparse_index_base_b
	.p2align	8
	.type	_ZN9rocsparseL29bsrmmnt_small_blockdim_kernelILj64ELj16ELj2EliffffEEv20rocsparse_direction_T3_S2_llNS_24const_host_device_scalarIT7_EEPKT2_PKS2_PKT4_PKT5_llS5_PT6_ll16rocsparse_order_21rocsparse_index_base_b,@function
_ZN9rocsparseL29bsrmmnt_small_blockdim_kernelILj64ELj16ELj2EliffffEEv20rocsparse_direction_T3_S2_llNS_24const_host_device_scalarIT7_EEPKT2_PKS2_PKT4_PKT5_llS5_PT6_ll16rocsparse_order_21rocsparse_index_base_b: ; @_ZN9rocsparseL29bsrmmnt_small_blockdim_kernelILj64ELj16ELj2EliffffEEv20rocsparse_direction_T3_S2_llNS_24const_host_device_scalarIT7_EEPKT2_PKS2_PKT4_PKT5_llS5_PT6_ll16rocsparse_order_21rocsparse_index_base_b
; %bb.0:
	s_clause 0x2
	s_load_b96 s[16:18], s[0:1], 0x78
	s_load_b64 s[2:3], s[0:1], 0x20
	s_load_b64 s[24:25], s[0:1], 0x58
	s_wait_kmcnt 0x0
	s_bitcmp1_b32 s18, 0
	s_cselect_b32 s4, -1, 0
	s_delay_alu instid0(SALU_CYCLE_1)
	s_and_b32 vcc_lo, exec_lo, s4
	s_xor_b32 s4, s4, -1
	s_cbranch_vccnz .LBB26_2
; %bb.1:
	s_load_b32 s2, s[2:3], 0x0
.LBB26_2:
	s_and_not1_b32 vcc_lo, exec_lo, s4
	s_cbranch_vccnz .LBB26_4
; %bb.3:
	s_load_b32 s24, s[24:25], 0x0
.LBB26_4:
	s_wait_kmcnt 0x0
	s_cmp_eq_f32 s2, 0
	s_cselect_b32 s3, -1, 0
	s_cmp_eq_f32 s24, 1.0
	s_cselect_b32 s4, -1, 0
	s_delay_alu instid0(SALU_CYCLE_1) | instskip(NEXT) | instid1(SALU_CYCLE_1)
	s_and_b32 s3, s3, s4
	s_and_b32 vcc_lo, exec_lo, s3
	s_cbranch_vccnz .LBB26_30
; %bb.5:
	s_clause 0x1
	s_load_b32 s3, s[0:1], 0x94
	s_load_b96 s[20:22], s[0:1], 0x0
	s_bfe_u32 s4, ttmp6, 0x4000c
	s_and_b32 s5, ttmp6, 15
	s_add_co_i32 s4, s4, 1
	s_getreg_b32 s6, hwreg(HW_REG_IB_STS2, 6, 4)
	s_mul_i32 s4, ttmp9, s4
	s_delay_alu instid0(SALU_CYCLE_1) | instskip(SKIP_4) | instid1(SALU_CYCLE_1)
	s_add_co_i32 s5, s5, s4
	s_wait_kmcnt 0x0
	s_and_b32 s3, s3, 0xffff
	s_cmp_eq_u32 s6, 0
	s_cselect_b32 s4, ttmp9, s5
	v_mad_u32 v2, s4, s3, v0
	s_mov_b32 s3, exec_lo
	s_delay_alu instid0(VALU_DEP_1) | instskip(NEXT) | instid1(VALU_DEP_1)
	v_lshrrev_b32_e32 v1, 5, v2
	v_cmpx_gt_i32_e64 s21, v1
	s_cbranch_execz .LBB26_30
; %bb.6:
	s_cmp_lt_i32 s22, 1
	s_cbranch_scc1 .LBB26_30
; %bb.7:
	s_load_b256 s[4:11], s[0:1], 0x28
	v_dual_lshlrev_b32 v1, 3, v1 :: v_dual_lshrrev_b32 v4, 4, v2
	s_load_b128 s[12:15], s[0:1], 0x60
	s_cmp_neq_f32 s24, 0
	s_mov_b32 s19, 0
	s_mov_b32 s18, s17
	v_lshrrev_b32_e32 v3, 4, v0
	s_cselect_b32 s3, -1, 0
	s_cmp_lg_u32 s16, 1
	v_and_b32_e32 v0, 15, v0
	s_cselect_b32 s16, -1, 0
	s_cmp_eq_u32 s20, 0
	v_lshl_or_b32 v20, v3, 6, 0x300
	v_mul_u32_u24_e32 v21, 0xc0, v3
	v_mul_u32_u24_e32 v16, 12, v0
	s_delay_alu instid0(VALU_DEP_3)
	v_lshl_or_b32 v22, v0, 2, v20
	s_wait_kmcnt 0x0
	global_load_b128 v[8:11], v1, s[4:5]
	s_wait_xcnt 0x0
	v_mov_b32_e32 v1, 0
	s_load_b64 s[4:5], s[0:1], 0x48
	s_wait_xcnt 0x0
	s_cselect_b32 s1, -1, 0
	v_add_nc_u32_e32 v23, v21, v16
	v_cndmask_b32_e64 v6, 0, 1, s1
	v_dual_mov_b32 v5, v1 :: v_dual_mov_b32 v3, v1
	v_mov_b32_e32 v15, v1
	s_and_b32 s1, s1, exec_lo
	s_delay_alu instid0(VALU_DEP_2) | instskip(SKIP_1) | instid1(VALU_DEP_1)
	v_mul_u64_e32 v[12:13], s[14:15], v[4:5]
	v_bfe_u32 v5, v2, 4, 1
	v_dual_lshlrev_b32 v2, 2, v4 :: v_dual_lshlrev_b32 v4, v6, v5
	s_delay_alu instid0(VALU_DEP_1) | instskip(NEXT) | instid1(VALU_DEP_2)
	v_add_nc_u64_e32 v[2:3], s[12:13], v[2:3]
	v_lshlrev_b32_e32 v14, 2, v4
	s_wait_loadcnt 0x0
	v_sub_nc_u64_e64 v[4:5], v[8:9], s[18:19]
	v_sub_nc_u64_e64 v[6:7], v[10:11], s[18:19]
	v_cmp_lt_i64_e64 s0, v[8:9], v[10:11]
	v_add_nc_u64_e32 v[8:9], s[8:9], v[14:15]
	v_lshl_add_u64 v[10:11], v[12:13], 2, s[12:13]
	s_cselect_b32 s18, 4, 8
	s_mov_b32 s8, s19
	s_branch .LBB26_9
.LBB26_8:                               ;   in Loop: Header=BB26_9 Depth=1
	s_wait_xcnt 0x0
	s_or_b32 exec_lo, exec_lo, s1
	s_add_co_i32 s8, s8, 16
	s_delay_alu instid0(SALU_CYCLE_1)
	s_cmp_lt_i32 s8, s22
	s_cbranch_scc0 .LBB26_30
.LBB26_9:                               ; =>This Loop Header: Depth=1
                                        ;     Child Loop BB26_12 Depth 2
                                        ;       Child Loop BB26_16 Depth 3
	v_dual_mov_b32 v24, 0 :: v_dual_bitop2_b32 v12, s8, v0 bitop3:0x54
	s_delay_alu instid0(VALU_DEP_1)
	v_ashrrev_i32_e32 v13, 31, v12
	s_and_saveexec_b32 s9, s0
	s_cbranch_execz .LBB26_18
; %bb.10:                               ;   in Loop: Header=BB26_9 Depth=1
	v_mov_b64_e32 v[16:17], v[4:5]
	s_delay_alu instid0(VALU_DEP_2)
	v_lshl_add_u64 v[14:15], v[12:13], 2, s[10:11]
	v_mov_b32_e32 v24, 0
	s_mov_b32 s12, 0
	v_cmp_gt_i32_e32 vcc_lo, s22, v12
	s_branch .LBB26_12
.LBB26_11:                              ;   in Loop: Header=BB26_12 Depth=2
	s_or_b32 exec_lo, exec_lo, s1
	v_add_nc_u64_e32 v[16:17], 16, v[16:17]
	s_delay_alu instid0(VALU_DEP_1) | instskip(SKIP_1) | instid1(SALU_CYCLE_1)
	v_cmp_ge_i64_e64 s1, v[16:17], v[6:7]
	s_or_b32 s12, s1, s12
	s_and_not1_b32 exec_lo, exec_lo, s12
	s_cbranch_execz .LBB26_17
.LBB26_12:                              ;   Parent Loop BB26_9 Depth=1
                                        ; =>  This Loop Header: Depth=2
                                        ;       Child Loop BB26_16 Depth 3
	s_delay_alu instid0(VALU_DEP_4) | instskip(SKIP_3) | instid1(VALU_DEP_3)
	v_add_nc_u64_e32 v[18:19], v[16:17], v[0:1]
	v_dual_mov_b32 v27, 0 :: v_dual_mov_b32 v25, 0
	v_mov_b32_e32 v26, 0
	s_mov_b32 s13, exec_lo
	v_cmpx_lt_i64_e64 v[18:19], v[6:7]
	s_cbranch_execz .LBB26_14
; %bb.13:                               ;   in Loop: Header=BB26_12 Depth=2
	v_lshl_add_u64 v[26:27], v[18:19], 2, s[6:7]
	v_lshl_add_u64 v[18:19], v[18:19], 4, v[8:9]
	global_load_b32 v27, v[26:27], off
	v_add_nc_u64_e32 v[28:29], s[18:19], v[18:19]
	s_clause 0x1
	global_load_b32 v25, v[18:19], off
	global_load_b32 v26, v[28:29], off
	s_wait_loadcnt 0x2
	s_wait_xcnt 0x1
	v_subrev_nc_u32_e32 v18, s17, v27
	s_delay_alu instid0(VALU_DEP_1)
	v_lshlrev_b32_e32 v27, 1, v18
.LBB26_14:                              ;   in Loop: Header=BB26_12 Depth=2
	s_wait_xcnt 0x0
	s_or_b32 exec_lo, exec_lo, s13
	ds_store_b32 v22, v27
	s_wait_loadcnt 0x0
	ds_store_2addr_b32 v23, v25, v26 offset1:1
	s_wait_dscnt 0x0
	s_barrier_signal -1
	s_barrier_wait -1
	s_and_saveexec_b32 s1, vcc_lo
	s_cbranch_execz .LBB26_11
; %bb.15:                               ;   in Loop: Header=BB26_12 Depth=2
	v_mov_b32_e32 v18, v21
	s_mov_b32 s13, 0
.LBB26_16:                              ;   Parent Loop BB26_9 Depth=1
                                        ;     Parent Loop BB26_12 Depth=2
                                        ; =>    This Inner Loop Header: Depth=3
	s_delay_alu instid0(SALU_CYCLE_1) | instskip(SKIP_1) | instid1(SALU_CYCLE_1)
	v_add_nc_u32_e32 v19, s13, v20
	s_add_co_i32 s13, s13, 8
	s_cmp_lg_u32 s13, 64
	ds_load_b64 v[26:27], v19
	s_wait_dscnt 0x0
	v_dual_mov_b32 v28, v26 :: v_dual_ashrrev_i32 v29, 31, v26
	v_dual_add_nc_u32 v30, 1, v26 :: v_dual_mov_b32 v32, v27
	v_dual_add_nc_u32 v26, 1, v27 :: v_dual_ashrrev_i32 v33, 31, v27
	s_wait_kmcnt 0x0
	s_delay_alu instid0(VALU_DEP_3) | instskip(NEXT) | instid1(VALU_DEP_3)
	v_mul_u64_e32 v[28:29], s[4:5], v[28:29]
	v_ashrrev_i32_e32 v31, 31, v30
	s_delay_alu instid0(VALU_DEP_3) | instskip(NEXT) | instid1(VALU_DEP_2)
	v_mul_u64_e32 v[32:33], s[4:5], v[32:33]
	v_mul_u64_e32 v[30:31], s[4:5], v[30:31]
	s_delay_alu instid0(VALU_DEP_4)
	v_lshl_add_u64 v[28:29], v[28:29], 2, v[14:15]
	global_load_b32 v19, v[28:29], off
	v_ashrrev_i32_e32 v27, 31, v26
	s_wait_xcnt 0x0
	v_lshl_add_u64 v[28:29], v[30:31], 2, v[14:15]
	v_lshl_add_u64 v[30:31], v[32:33], 2, v[14:15]
	s_delay_alu instid0(VALU_DEP_3)
	v_mul_u64_e32 v[26:27], s[4:5], v[26:27]
	global_load_b32 v25, v[28:29], off
	v_lshl_add_u64 v[26:27], v[26:27], 2, v[14:15]
	s_clause 0x1
	global_load_b32 v32, v[30:31], off
	global_load_b32 v33, v[26:27], off
	s_wait_xcnt 0x0
	ds_load_b64 v[26:27], v18
	ds_load_2addr_b32 v[28:29], v18 offset0:3 offset1:4
	s_wait_loadcnt_dscnt 0x301
	v_dual_add_nc_u32 v18, 24, v18 :: v_dual_fmac_f32 v24, v26, v19
	s_wait_loadcnt 0x2
	s_delay_alu instid0(VALU_DEP_1) | instskip(SKIP_1) | instid1(VALU_DEP_1)
	v_fmac_f32_e32 v24, v27, v25
	s_wait_loadcnt_dscnt 0x100
	v_fmac_f32_e32 v24, v28, v32
	s_wait_loadcnt 0x0
	s_delay_alu instid0(VALU_DEP_1)
	v_fmac_f32_e32 v24, v29, v33
	s_cbranch_scc1 .LBB26_16
	s_branch .LBB26_11
.LBB26_17:                              ;   in Loop: Header=BB26_9 Depth=1
	s_or_b32 exec_lo, exec_lo, s12
.LBB26_18:                              ;   in Loop: Header=BB26_9 Depth=1
	s_delay_alu instid0(SALU_CYCLE_1) | instskip(NEXT) | instid1(SALU_CYCLE_1)
	s_or_b32 exec_lo, exec_lo, s9
	s_mov_b32 s1, exec_lo
	v_cmpx_gt_i32_e64 s22, v12
	s_cbranch_execz .LBB26_8
; %bb.19:                               ;   in Loop: Header=BB26_9 Depth=1
	s_and_b32 vcc_lo, exec_lo, s3
	s_cbranch_vccz .LBB26_25
; %bb.20:                               ;   in Loop: Header=BB26_9 Depth=1
	s_and_b32 vcc_lo, exec_lo, s16
	s_mov_b32 s9, -1
	s_cbranch_vccz .LBB26_22
; %bb.21:                               ;   in Loop: Header=BB26_9 Depth=1
	v_lshl_add_u64 v[14:15], v[12:13], 2, v[10:11]
	v_mul_f32_e32 v17, s2, v24
	s_mov_b32 s9, 0
	global_load_b32 v16, v[14:15], off
	s_wait_loadcnt 0x0
	v_fmac_f32_e32 v17, s24, v16
	global_store_b32 v[14:15], v17, off
.LBB26_22:                              ;   in Loop: Header=BB26_9 Depth=1
	s_and_not1_b32 vcc_lo, exec_lo, s9
	s_cbranch_vccnz .LBB26_24
; %bb.23:                               ;   in Loop: Header=BB26_9 Depth=1
	s_wait_xcnt 0x0
	v_mul_u64_e32 v[14:15], s[14:15], v[12:13]
	v_mul_f32_e32 v17, s2, v24
	s_delay_alu instid0(VALU_DEP_2)
	v_lshl_add_u64 v[14:15], v[14:15], 2, v[2:3]
	global_load_b32 v16, v[14:15], off
	s_wait_loadcnt 0x0
	v_fmac_f32_e32 v17, s24, v16
	global_store_b32 v[14:15], v17, off
.LBB26_24:                              ;   in Loop: Header=BB26_9 Depth=1
	s_cbranch_execnz .LBB26_8
	s_branch .LBB26_26
.LBB26_25:                              ;   in Loop: Header=BB26_9 Depth=1
.LBB26_26:                              ;   in Loop: Header=BB26_9 Depth=1
	s_wait_xcnt 0x0
	v_mul_f32_e32 v14, s2, v24
	s_and_b32 vcc_lo, exec_lo, s16
	s_mov_b32 s9, -1
	s_cbranch_vccz .LBB26_28
; %bb.27:                               ;   in Loop: Header=BB26_9 Depth=1
	v_lshl_add_u64 v[16:17], v[12:13], 2, v[10:11]
	s_mov_b32 s9, 0
	global_store_b32 v[16:17], v14, off
.LBB26_28:                              ;   in Loop: Header=BB26_9 Depth=1
	s_and_not1_b32 vcc_lo, exec_lo, s9
	s_cbranch_vccnz .LBB26_8
; %bb.29:                               ;   in Loop: Header=BB26_9 Depth=1
	v_mul_u64_e32 v[12:13], s[14:15], v[12:13]
	s_delay_alu instid0(VALU_DEP_1)
	v_lshl_add_u64 v[12:13], v[12:13], 2, v[2:3]
	global_store_b32 v[12:13], v14, off
	s_branch .LBB26_8
.LBB26_30:
	s_endpgm
	.section	.rodata,"a",@progbits
	.p2align	6, 0x0
	.amdhsa_kernel _ZN9rocsparseL29bsrmmnt_small_blockdim_kernelILj64ELj16ELj2EliffffEEv20rocsparse_direction_T3_S2_llNS_24const_host_device_scalarIT7_EEPKT2_PKS2_PKT4_PKT5_llS5_PT6_ll16rocsparse_order_21rocsparse_index_base_b
		.amdhsa_group_segment_fixed_size 1024
		.amdhsa_private_segment_fixed_size 0
		.amdhsa_kernarg_size 392
		.amdhsa_user_sgpr_count 2
		.amdhsa_user_sgpr_dispatch_ptr 0
		.amdhsa_user_sgpr_queue_ptr 0
		.amdhsa_user_sgpr_kernarg_segment_ptr 1
		.amdhsa_user_sgpr_dispatch_id 0
		.amdhsa_user_sgpr_kernarg_preload_length 0
		.amdhsa_user_sgpr_kernarg_preload_offset 0
		.amdhsa_user_sgpr_private_segment_size 0
		.amdhsa_wavefront_size32 1
		.amdhsa_uses_dynamic_stack 0
		.amdhsa_enable_private_segment 0
		.amdhsa_system_sgpr_workgroup_id_x 1
		.amdhsa_system_sgpr_workgroup_id_y 0
		.amdhsa_system_sgpr_workgroup_id_z 0
		.amdhsa_system_sgpr_workgroup_info 0
		.amdhsa_system_vgpr_workitem_id 0
		.amdhsa_next_free_vgpr 34
		.amdhsa_next_free_sgpr 26
		.amdhsa_named_barrier_count 0
		.amdhsa_reserve_vcc 1
		.amdhsa_float_round_mode_32 0
		.amdhsa_float_round_mode_16_64 0
		.amdhsa_float_denorm_mode_32 3
		.amdhsa_float_denorm_mode_16_64 3
		.amdhsa_fp16_overflow 0
		.amdhsa_memory_ordered 1
		.amdhsa_forward_progress 1
		.amdhsa_inst_pref_size 11
		.amdhsa_round_robin_scheduling 0
		.amdhsa_exception_fp_ieee_invalid_op 0
		.amdhsa_exception_fp_denorm_src 0
		.amdhsa_exception_fp_ieee_div_zero 0
		.amdhsa_exception_fp_ieee_overflow 0
		.amdhsa_exception_fp_ieee_underflow 0
		.amdhsa_exception_fp_ieee_inexact 0
		.amdhsa_exception_int_div_zero 0
	.end_amdhsa_kernel
	.section	.text._ZN9rocsparseL29bsrmmnt_small_blockdim_kernelILj64ELj16ELj2EliffffEEv20rocsparse_direction_T3_S2_llNS_24const_host_device_scalarIT7_EEPKT2_PKS2_PKT4_PKT5_llS5_PT6_ll16rocsparse_order_21rocsparse_index_base_b,"axG",@progbits,_ZN9rocsparseL29bsrmmnt_small_blockdim_kernelILj64ELj16ELj2EliffffEEv20rocsparse_direction_T3_S2_llNS_24const_host_device_scalarIT7_EEPKT2_PKS2_PKT4_PKT5_llS5_PT6_ll16rocsparse_order_21rocsparse_index_base_b,comdat
.Lfunc_end26:
	.size	_ZN9rocsparseL29bsrmmnt_small_blockdim_kernelILj64ELj16ELj2EliffffEEv20rocsparse_direction_T3_S2_llNS_24const_host_device_scalarIT7_EEPKT2_PKS2_PKT4_PKT5_llS5_PT6_ll16rocsparse_order_21rocsparse_index_base_b, .Lfunc_end26-_ZN9rocsparseL29bsrmmnt_small_blockdim_kernelILj64ELj16ELj2EliffffEEv20rocsparse_direction_T3_S2_llNS_24const_host_device_scalarIT7_EEPKT2_PKS2_PKT4_PKT5_llS5_PT6_ll16rocsparse_order_21rocsparse_index_base_b
                                        ; -- End function
	.set _ZN9rocsparseL29bsrmmnt_small_blockdim_kernelILj64ELj16ELj2EliffffEEv20rocsparse_direction_T3_S2_llNS_24const_host_device_scalarIT7_EEPKT2_PKS2_PKT4_PKT5_llS5_PT6_ll16rocsparse_order_21rocsparse_index_base_b.num_vgpr, 34
	.set _ZN9rocsparseL29bsrmmnt_small_blockdim_kernelILj64ELj16ELj2EliffffEEv20rocsparse_direction_T3_S2_llNS_24const_host_device_scalarIT7_EEPKT2_PKS2_PKT4_PKT5_llS5_PT6_ll16rocsparse_order_21rocsparse_index_base_b.num_agpr, 0
	.set _ZN9rocsparseL29bsrmmnt_small_blockdim_kernelILj64ELj16ELj2EliffffEEv20rocsparse_direction_T3_S2_llNS_24const_host_device_scalarIT7_EEPKT2_PKS2_PKT4_PKT5_llS5_PT6_ll16rocsparse_order_21rocsparse_index_base_b.numbered_sgpr, 26
	.set _ZN9rocsparseL29bsrmmnt_small_blockdim_kernelILj64ELj16ELj2EliffffEEv20rocsparse_direction_T3_S2_llNS_24const_host_device_scalarIT7_EEPKT2_PKS2_PKT4_PKT5_llS5_PT6_ll16rocsparse_order_21rocsparse_index_base_b.num_named_barrier, 0
	.set _ZN9rocsparseL29bsrmmnt_small_blockdim_kernelILj64ELj16ELj2EliffffEEv20rocsparse_direction_T3_S2_llNS_24const_host_device_scalarIT7_EEPKT2_PKS2_PKT4_PKT5_llS5_PT6_ll16rocsparse_order_21rocsparse_index_base_b.private_seg_size, 0
	.set _ZN9rocsparseL29bsrmmnt_small_blockdim_kernelILj64ELj16ELj2EliffffEEv20rocsparse_direction_T3_S2_llNS_24const_host_device_scalarIT7_EEPKT2_PKS2_PKT4_PKT5_llS5_PT6_ll16rocsparse_order_21rocsparse_index_base_b.uses_vcc, 1
	.set _ZN9rocsparseL29bsrmmnt_small_blockdim_kernelILj64ELj16ELj2EliffffEEv20rocsparse_direction_T3_S2_llNS_24const_host_device_scalarIT7_EEPKT2_PKS2_PKT4_PKT5_llS5_PT6_ll16rocsparse_order_21rocsparse_index_base_b.uses_flat_scratch, 0
	.set _ZN9rocsparseL29bsrmmnt_small_blockdim_kernelILj64ELj16ELj2EliffffEEv20rocsparse_direction_T3_S2_llNS_24const_host_device_scalarIT7_EEPKT2_PKS2_PKT4_PKT5_llS5_PT6_ll16rocsparse_order_21rocsparse_index_base_b.has_dyn_sized_stack, 0
	.set _ZN9rocsparseL29bsrmmnt_small_blockdim_kernelILj64ELj16ELj2EliffffEEv20rocsparse_direction_T3_S2_llNS_24const_host_device_scalarIT7_EEPKT2_PKS2_PKT4_PKT5_llS5_PT6_ll16rocsparse_order_21rocsparse_index_base_b.has_recursion, 0
	.set _ZN9rocsparseL29bsrmmnt_small_blockdim_kernelILj64ELj16ELj2EliffffEEv20rocsparse_direction_T3_S2_llNS_24const_host_device_scalarIT7_EEPKT2_PKS2_PKT4_PKT5_llS5_PT6_ll16rocsparse_order_21rocsparse_index_base_b.has_indirect_call, 0
	.section	.AMDGPU.csdata,"",@progbits
; Kernel info:
; codeLenInByte = 1308
; TotalNumSgprs: 28
; NumVgprs: 34
; ScratchSize: 0
; MemoryBound: 0
; FloatMode: 240
; IeeeMode: 1
; LDSByteSize: 1024 bytes/workgroup (compile time only)
; SGPRBlocks: 0
; VGPRBlocks: 2
; NumSGPRsForWavesPerEU: 28
; NumVGPRsForWavesPerEU: 34
; NamedBarCnt: 0
; Occupancy: 16
; WaveLimiterHint : 0
; COMPUTE_PGM_RSRC2:SCRATCH_EN: 0
; COMPUTE_PGM_RSRC2:USER_SGPR: 2
; COMPUTE_PGM_RSRC2:TRAP_HANDLER: 0
; COMPUTE_PGM_RSRC2:TGID_X_EN: 1
; COMPUTE_PGM_RSRC2:TGID_Y_EN: 0
; COMPUTE_PGM_RSRC2:TGID_Z_EN: 0
; COMPUTE_PGM_RSRC2:TIDIG_COMP_CNT: 0
	.section	.text._ZN9rocsparseL29bsrmmnt_small_blockdim_kernelILj64ELj32ELj2EliffffEEv20rocsparse_direction_T3_S2_llNS_24const_host_device_scalarIT7_EEPKT2_PKS2_PKT4_PKT5_llS5_PT6_ll16rocsparse_order_21rocsparse_index_base_b,"axG",@progbits,_ZN9rocsparseL29bsrmmnt_small_blockdim_kernelILj64ELj32ELj2EliffffEEv20rocsparse_direction_T3_S2_llNS_24const_host_device_scalarIT7_EEPKT2_PKS2_PKT4_PKT5_llS5_PT6_ll16rocsparse_order_21rocsparse_index_base_b,comdat
	.globl	_ZN9rocsparseL29bsrmmnt_small_blockdim_kernelILj64ELj32ELj2EliffffEEv20rocsparse_direction_T3_S2_llNS_24const_host_device_scalarIT7_EEPKT2_PKS2_PKT4_PKT5_llS5_PT6_ll16rocsparse_order_21rocsparse_index_base_b ; -- Begin function _ZN9rocsparseL29bsrmmnt_small_blockdim_kernelILj64ELj32ELj2EliffffEEv20rocsparse_direction_T3_S2_llNS_24const_host_device_scalarIT7_EEPKT2_PKS2_PKT4_PKT5_llS5_PT6_ll16rocsparse_order_21rocsparse_index_base_b
	.p2align	8
	.type	_ZN9rocsparseL29bsrmmnt_small_blockdim_kernelILj64ELj32ELj2EliffffEEv20rocsparse_direction_T3_S2_llNS_24const_host_device_scalarIT7_EEPKT2_PKS2_PKT4_PKT5_llS5_PT6_ll16rocsparse_order_21rocsparse_index_base_b,@function
_ZN9rocsparseL29bsrmmnt_small_blockdim_kernelILj64ELj32ELj2EliffffEEv20rocsparse_direction_T3_S2_llNS_24const_host_device_scalarIT7_EEPKT2_PKS2_PKT4_PKT5_llS5_PT6_ll16rocsparse_order_21rocsparse_index_base_b: ; @_ZN9rocsparseL29bsrmmnt_small_blockdim_kernelILj64ELj32ELj2EliffffEEv20rocsparse_direction_T3_S2_llNS_24const_host_device_scalarIT7_EEPKT2_PKS2_PKT4_PKT5_llS5_PT6_ll16rocsparse_order_21rocsparse_index_base_b
; %bb.0:
	s_clause 0x2
	s_load_b96 s[16:18], s[0:1], 0x78
	s_load_b64 s[2:3], s[0:1], 0x20
	s_load_b64 s[24:25], s[0:1], 0x58
	s_wait_kmcnt 0x0
	s_bitcmp1_b32 s18, 0
	s_cselect_b32 s4, -1, 0
	s_delay_alu instid0(SALU_CYCLE_1)
	s_and_b32 vcc_lo, exec_lo, s4
	s_xor_b32 s4, s4, -1
	s_cbranch_vccnz .LBB27_2
; %bb.1:
	s_load_b32 s2, s[2:3], 0x0
.LBB27_2:
	s_and_not1_b32 vcc_lo, exec_lo, s4
	s_cbranch_vccnz .LBB27_4
; %bb.3:
	s_load_b32 s24, s[24:25], 0x0
.LBB27_4:
	s_wait_kmcnt 0x0
	s_cmp_eq_f32 s2, 0
	s_cselect_b32 s3, -1, 0
	s_cmp_eq_f32 s24, 1.0
	s_cselect_b32 s4, -1, 0
	s_delay_alu instid0(SALU_CYCLE_1) | instskip(NEXT) | instid1(SALU_CYCLE_1)
	s_and_b32 s3, s3, s4
	s_and_b32 vcc_lo, exec_lo, s3
	s_cbranch_vccnz .LBB27_30
; %bb.5:
	s_clause 0x1
	s_load_b32 s3, s[0:1], 0x94
	s_load_b96 s[20:22], s[0:1], 0x0
	s_bfe_u32 s4, ttmp6, 0x4000c
	s_and_b32 s5, ttmp6, 15
	s_add_co_i32 s4, s4, 1
	s_getreg_b32 s6, hwreg(HW_REG_IB_STS2, 6, 4)
	s_mul_i32 s4, ttmp9, s4
	s_delay_alu instid0(SALU_CYCLE_1) | instskip(SKIP_4) | instid1(SALU_CYCLE_1)
	s_add_co_i32 s5, s5, s4
	s_wait_kmcnt 0x0
	s_and_b32 s3, s3, 0xffff
	s_cmp_eq_u32 s6, 0
	s_cselect_b32 s4, ttmp9, s5
	v_mad_u32 v2, s4, s3, v0
	s_mov_b32 s3, exec_lo
	s_delay_alu instid0(VALU_DEP_1) | instskip(NEXT) | instid1(VALU_DEP_1)
	v_lshrrev_b32_e32 v1, 6, v2
	v_cmpx_gt_i32_e64 s21, v1
	s_cbranch_execz .LBB27_30
; %bb.6:
	s_cmp_lt_i32 s22, 1
	s_cbranch_scc1 .LBB27_30
; %bb.7:
	s_load_b256 s[4:11], s[0:1], 0x28
	v_dual_lshlrev_b32 v1, 3, v1 :: v_dual_lshrrev_b32 v4, 5, v2
	s_load_b128 s[12:15], s[0:1], 0x60
	s_cmp_neq_f32 s24, 0
	s_mov_b32 s19, 0
	s_mov_b32 s18, s17
	v_lshrrev_b32_e32 v3, 5, v0
	s_cselect_b32 s3, -1, 0
	s_cmp_lg_u32 s16, 1
	v_and_b32_e32 v0, 31, v0
	s_cselect_b32 s16, -1, 0
	s_cmp_eq_u32 s20, 0
	v_lshl_or_b32 v20, v3, 7, 0x300
	v_mul_u32_u24_e32 v21, 0x180, v3
	v_mul_u32_u24_e32 v16, 12, v0
	s_delay_alu instid0(VALU_DEP_3)
	v_lshl_or_b32 v22, v0, 2, v20
	s_wait_kmcnt 0x0
	global_load_b128 v[8:11], v1, s[4:5]
	s_wait_xcnt 0x0
	v_mov_b32_e32 v1, 0
	s_load_b64 s[4:5], s[0:1], 0x48
	s_wait_xcnt 0x0
	s_cselect_b32 s1, -1, 0
	v_add_nc_u32_e32 v23, v21, v16
	v_cndmask_b32_e64 v6, 0, 1, s1
	v_dual_mov_b32 v5, v1 :: v_dual_mov_b32 v3, v1
	v_mov_b32_e32 v15, v1
	s_and_b32 s1, s1, exec_lo
	s_delay_alu instid0(VALU_DEP_2) | instskip(SKIP_1) | instid1(VALU_DEP_1)
	v_mul_u64_e32 v[12:13], s[14:15], v[4:5]
	v_bfe_u32 v5, v2, 5, 1
	v_dual_lshlrev_b32 v2, 2, v4 :: v_dual_lshlrev_b32 v4, v6, v5
	s_delay_alu instid0(VALU_DEP_1) | instskip(NEXT) | instid1(VALU_DEP_2)
	v_add_nc_u64_e32 v[2:3], s[12:13], v[2:3]
	v_lshlrev_b32_e32 v14, 2, v4
	s_wait_loadcnt 0x0
	v_sub_nc_u64_e64 v[4:5], v[8:9], s[18:19]
	v_sub_nc_u64_e64 v[6:7], v[10:11], s[18:19]
	v_cmp_lt_i64_e64 s0, v[8:9], v[10:11]
	v_add_nc_u64_e32 v[8:9], s[8:9], v[14:15]
	v_lshl_add_u64 v[10:11], v[12:13], 2, s[12:13]
	s_cselect_b32 s18, 4, 8
	s_mov_b32 s8, s19
	s_branch .LBB27_9
.LBB27_8:                               ;   in Loop: Header=BB27_9 Depth=1
	s_wait_xcnt 0x0
	s_or_b32 exec_lo, exec_lo, s1
	s_add_co_i32 s8, s8, 32
	s_delay_alu instid0(SALU_CYCLE_1)
	s_cmp_lt_i32 s8, s22
	s_cbranch_scc0 .LBB27_30
.LBB27_9:                               ; =>This Loop Header: Depth=1
                                        ;     Child Loop BB27_12 Depth 2
                                        ;       Child Loop BB27_16 Depth 3
	v_dual_mov_b32 v24, 0 :: v_dual_bitop2_b32 v12, s8, v0 bitop3:0x54
	s_delay_alu instid0(VALU_DEP_1)
	v_ashrrev_i32_e32 v13, 31, v12
	s_and_saveexec_b32 s9, s0
	s_cbranch_execz .LBB27_18
; %bb.10:                               ;   in Loop: Header=BB27_9 Depth=1
	v_mov_b64_e32 v[16:17], v[4:5]
	s_delay_alu instid0(VALU_DEP_2)
	v_lshl_add_u64 v[14:15], v[12:13], 2, s[10:11]
	v_mov_b32_e32 v24, 0
	s_mov_b32 s12, 0
	v_cmp_gt_i32_e32 vcc_lo, s22, v12
	s_branch .LBB27_12
.LBB27_11:                              ;   in Loop: Header=BB27_12 Depth=2
	s_or_b32 exec_lo, exec_lo, s1
	v_add_nc_u64_e32 v[16:17], 32, v[16:17]
	s_delay_alu instid0(VALU_DEP_1) | instskip(SKIP_1) | instid1(SALU_CYCLE_1)
	v_cmp_ge_i64_e64 s1, v[16:17], v[6:7]
	s_or_b32 s12, s1, s12
	s_and_not1_b32 exec_lo, exec_lo, s12
	s_cbranch_execz .LBB27_17
.LBB27_12:                              ;   Parent Loop BB27_9 Depth=1
                                        ; =>  This Loop Header: Depth=2
                                        ;       Child Loop BB27_16 Depth 3
	s_delay_alu instid0(VALU_DEP_4) | instskip(SKIP_3) | instid1(VALU_DEP_3)
	v_add_nc_u64_e32 v[18:19], v[16:17], v[0:1]
	v_dual_mov_b32 v27, 0 :: v_dual_mov_b32 v25, 0
	v_mov_b32_e32 v26, 0
	s_mov_b32 s13, exec_lo
	v_cmpx_lt_i64_e64 v[18:19], v[6:7]
	s_cbranch_execz .LBB27_14
; %bb.13:                               ;   in Loop: Header=BB27_12 Depth=2
	v_lshl_add_u64 v[26:27], v[18:19], 2, s[6:7]
	v_lshl_add_u64 v[18:19], v[18:19], 4, v[8:9]
	global_load_b32 v27, v[26:27], off
	v_add_nc_u64_e32 v[28:29], s[18:19], v[18:19]
	s_clause 0x1
	global_load_b32 v25, v[18:19], off
	global_load_b32 v26, v[28:29], off
	s_wait_loadcnt 0x2
	s_wait_xcnt 0x1
	v_subrev_nc_u32_e32 v18, s17, v27
	s_delay_alu instid0(VALU_DEP_1)
	v_lshlrev_b32_e32 v27, 1, v18
.LBB27_14:                              ;   in Loop: Header=BB27_12 Depth=2
	s_wait_xcnt 0x0
	s_or_b32 exec_lo, exec_lo, s13
	ds_store_b32 v22, v27
	s_wait_loadcnt 0x0
	ds_store_2addr_b32 v23, v25, v26 offset1:1
	s_wait_dscnt 0x0
	s_barrier_signal -1
	s_barrier_wait -1
	s_and_saveexec_b32 s1, vcc_lo
	s_cbranch_execz .LBB27_11
; %bb.15:                               ;   in Loop: Header=BB27_12 Depth=2
	v_mov_b32_e32 v18, v21
	s_mov_b32 s13, 0
.LBB27_16:                              ;   Parent Loop BB27_9 Depth=1
                                        ;     Parent Loop BB27_12 Depth=2
                                        ; =>    This Inner Loop Header: Depth=3
	s_delay_alu instid0(SALU_CYCLE_1) | instskip(SKIP_1) | instid1(SALU_CYCLE_1)
	v_add_nc_u32_e32 v19, s13, v20
	s_add_co_i32 s13, s13, 8
	s_cmp_lg_u32 s13, 0x80
	ds_load_b64 v[26:27], v19
	s_wait_dscnt 0x0
	v_dual_mov_b32 v28, v26 :: v_dual_ashrrev_i32 v29, 31, v26
	v_dual_add_nc_u32 v30, 1, v26 :: v_dual_mov_b32 v32, v27
	v_dual_add_nc_u32 v26, 1, v27 :: v_dual_ashrrev_i32 v33, 31, v27
	s_wait_kmcnt 0x0
	s_delay_alu instid0(VALU_DEP_3) | instskip(NEXT) | instid1(VALU_DEP_3)
	v_mul_u64_e32 v[28:29], s[4:5], v[28:29]
	v_ashrrev_i32_e32 v31, 31, v30
	s_delay_alu instid0(VALU_DEP_3) | instskip(NEXT) | instid1(VALU_DEP_2)
	v_mul_u64_e32 v[32:33], s[4:5], v[32:33]
	v_mul_u64_e32 v[30:31], s[4:5], v[30:31]
	s_delay_alu instid0(VALU_DEP_4)
	v_lshl_add_u64 v[28:29], v[28:29], 2, v[14:15]
	global_load_b32 v19, v[28:29], off
	v_ashrrev_i32_e32 v27, 31, v26
	s_wait_xcnt 0x0
	v_lshl_add_u64 v[28:29], v[30:31], 2, v[14:15]
	v_lshl_add_u64 v[30:31], v[32:33], 2, v[14:15]
	s_delay_alu instid0(VALU_DEP_3)
	v_mul_u64_e32 v[26:27], s[4:5], v[26:27]
	global_load_b32 v25, v[28:29], off
	v_lshl_add_u64 v[26:27], v[26:27], 2, v[14:15]
	s_clause 0x1
	global_load_b32 v32, v[30:31], off
	global_load_b32 v33, v[26:27], off
	s_wait_xcnt 0x0
	ds_load_b64 v[26:27], v18
	ds_load_2addr_b32 v[28:29], v18 offset0:3 offset1:4
	s_wait_loadcnt_dscnt 0x301
	v_dual_add_nc_u32 v18, 24, v18 :: v_dual_fmac_f32 v24, v26, v19
	s_wait_loadcnt 0x2
	s_delay_alu instid0(VALU_DEP_1) | instskip(SKIP_1) | instid1(VALU_DEP_1)
	v_fmac_f32_e32 v24, v27, v25
	s_wait_loadcnt_dscnt 0x100
	v_fmac_f32_e32 v24, v28, v32
	s_wait_loadcnt 0x0
	s_delay_alu instid0(VALU_DEP_1)
	v_fmac_f32_e32 v24, v29, v33
	s_cbranch_scc1 .LBB27_16
	s_branch .LBB27_11
.LBB27_17:                              ;   in Loop: Header=BB27_9 Depth=1
	s_or_b32 exec_lo, exec_lo, s12
.LBB27_18:                              ;   in Loop: Header=BB27_9 Depth=1
	s_delay_alu instid0(SALU_CYCLE_1) | instskip(NEXT) | instid1(SALU_CYCLE_1)
	s_or_b32 exec_lo, exec_lo, s9
	s_mov_b32 s1, exec_lo
	v_cmpx_gt_i32_e64 s22, v12
	s_cbranch_execz .LBB27_8
; %bb.19:                               ;   in Loop: Header=BB27_9 Depth=1
	s_and_b32 vcc_lo, exec_lo, s3
	s_cbranch_vccz .LBB27_25
; %bb.20:                               ;   in Loop: Header=BB27_9 Depth=1
	s_and_b32 vcc_lo, exec_lo, s16
	s_mov_b32 s9, -1
	s_cbranch_vccz .LBB27_22
; %bb.21:                               ;   in Loop: Header=BB27_9 Depth=1
	v_lshl_add_u64 v[14:15], v[12:13], 2, v[10:11]
	v_mul_f32_e32 v17, s2, v24
	s_mov_b32 s9, 0
	global_load_b32 v16, v[14:15], off
	s_wait_loadcnt 0x0
	v_fmac_f32_e32 v17, s24, v16
	global_store_b32 v[14:15], v17, off
.LBB27_22:                              ;   in Loop: Header=BB27_9 Depth=1
	s_and_not1_b32 vcc_lo, exec_lo, s9
	s_cbranch_vccnz .LBB27_24
; %bb.23:                               ;   in Loop: Header=BB27_9 Depth=1
	s_wait_xcnt 0x0
	v_mul_u64_e32 v[14:15], s[14:15], v[12:13]
	v_mul_f32_e32 v17, s2, v24
	s_delay_alu instid0(VALU_DEP_2)
	v_lshl_add_u64 v[14:15], v[14:15], 2, v[2:3]
	global_load_b32 v16, v[14:15], off
	s_wait_loadcnt 0x0
	v_fmac_f32_e32 v17, s24, v16
	global_store_b32 v[14:15], v17, off
.LBB27_24:                              ;   in Loop: Header=BB27_9 Depth=1
	s_cbranch_execnz .LBB27_8
	s_branch .LBB27_26
.LBB27_25:                              ;   in Loop: Header=BB27_9 Depth=1
.LBB27_26:                              ;   in Loop: Header=BB27_9 Depth=1
	s_wait_xcnt 0x0
	v_mul_f32_e32 v14, s2, v24
	s_and_b32 vcc_lo, exec_lo, s16
	s_mov_b32 s9, -1
	s_cbranch_vccz .LBB27_28
; %bb.27:                               ;   in Loop: Header=BB27_9 Depth=1
	v_lshl_add_u64 v[16:17], v[12:13], 2, v[10:11]
	s_mov_b32 s9, 0
	global_store_b32 v[16:17], v14, off
.LBB27_28:                              ;   in Loop: Header=BB27_9 Depth=1
	s_and_not1_b32 vcc_lo, exec_lo, s9
	s_cbranch_vccnz .LBB27_8
; %bb.29:                               ;   in Loop: Header=BB27_9 Depth=1
	v_mul_u64_e32 v[12:13], s[14:15], v[12:13]
	s_delay_alu instid0(VALU_DEP_1)
	v_lshl_add_u64 v[12:13], v[12:13], 2, v[2:3]
	global_store_b32 v[12:13], v14, off
	s_branch .LBB27_8
.LBB27_30:
	s_endpgm
	.section	.rodata,"a",@progbits
	.p2align	6, 0x0
	.amdhsa_kernel _ZN9rocsparseL29bsrmmnt_small_blockdim_kernelILj64ELj32ELj2EliffffEEv20rocsparse_direction_T3_S2_llNS_24const_host_device_scalarIT7_EEPKT2_PKS2_PKT4_PKT5_llS5_PT6_ll16rocsparse_order_21rocsparse_index_base_b
		.amdhsa_group_segment_fixed_size 1024
		.amdhsa_private_segment_fixed_size 0
		.amdhsa_kernarg_size 392
		.amdhsa_user_sgpr_count 2
		.amdhsa_user_sgpr_dispatch_ptr 0
		.amdhsa_user_sgpr_queue_ptr 0
		.amdhsa_user_sgpr_kernarg_segment_ptr 1
		.amdhsa_user_sgpr_dispatch_id 0
		.amdhsa_user_sgpr_kernarg_preload_length 0
		.amdhsa_user_sgpr_kernarg_preload_offset 0
		.amdhsa_user_sgpr_private_segment_size 0
		.amdhsa_wavefront_size32 1
		.amdhsa_uses_dynamic_stack 0
		.amdhsa_enable_private_segment 0
		.amdhsa_system_sgpr_workgroup_id_x 1
		.amdhsa_system_sgpr_workgroup_id_y 0
		.amdhsa_system_sgpr_workgroup_id_z 0
		.amdhsa_system_sgpr_workgroup_info 0
		.amdhsa_system_vgpr_workitem_id 0
		.amdhsa_next_free_vgpr 34
		.amdhsa_next_free_sgpr 26
		.amdhsa_named_barrier_count 0
		.amdhsa_reserve_vcc 1
		.amdhsa_float_round_mode_32 0
		.amdhsa_float_round_mode_16_64 0
		.amdhsa_float_denorm_mode_32 3
		.amdhsa_float_denorm_mode_16_64 3
		.amdhsa_fp16_overflow 0
		.amdhsa_memory_ordered 1
		.amdhsa_forward_progress 1
		.amdhsa_inst_pref_size 11
		.amdhsa_round_robin_scheduling 0
		.amdhsa_exception_fp_ieee_invalid_op 0
		.amdhsa_exception_fp_denorm_src 0
		.amdhsa_exception_fp_ieee_div_zero 0
		.amdhsa_exception_fp_ieee_overflow 0
		.amdhsa_exception_fp_ieee_underflow 0
		.amdhsa_exception_fp_ieee_inexact 0
		.amdhsa_exception_int_div_zero 0
	.end_amdhsa_kernel
	.section	.text._ZN9rocsparseL29bsrmmnt_small_blockdim_kernelILj64ELj32ELj2EliffffEEv20rocsparse_direction_T3_S2_llNS_24const_host_device_scalarIT7_EEPKT2_PKS2_PKT4_PKT5_llS5_PT6_ll16rocsparse_order_21rocsparse_index_base_b,"axG",@progbits,_ZN9rocsparseL29bsrmmnt_small_blockdim_kernelILj64ELj32ELj2EliffffEEv20rocsparse_direction_T3_S2_llNS_24const_host_device_scalarIT7_EEPKT2_PKS2_PKT4_PKT5_llS5_PT6_ll16rocsparse_order_21rocsparse_index_base_b,comdat
.Lfunc_end27:
	.size	_ZN9rocsparseL29bsrmmnt_small_blockdim_kernelILj64ELj32ELj2EliffffEEv20rocsparse_direction_T3_S2_llNS_24const_host_device_scalarIT7_EEPKT2_PKS2_PKT4_PKT5_llS5_PT6_ll16rocsparse_order_21rocsparse_index_base_b, .Lfunc_end27-_ZN9rocsparseL29bsrmmnt_small_blockdim_kernelILj64ELj32ELj2EliffffEEv20rocsparse_direction_T3_S2_llNS_24const_host_device_scalarIT7_EEPKT2_PKS2_PKT4_PKT5_llS5_PT6_ll16rocsparse_order_21rocsparse_index_base_b
                                        ; -- End function
	.set _ZN9rocsparseL29bsrmmnt_small_blockdim_kernelILj64ELj32ELj2EliffffEEv20rocsparse_direction_T3_S2_llNS_24const_host_device_scalarIT7_EEPKT2_PKS2_PKT4_PKT5_llS5_PT6_ll16rocsparse_order_21rocsparse_index_base_b.num_vgpr, 34
	.set _ZN9rocsparseL29bsrmmnt_small_blockdim_kernelILj64ELj32ELj2EliffffEEv20rocsparse_direction_T3_S2_llNS_24const_host_device_scalarIT7_EEPKT2_PKS2_PKT4_PKT5_llS5_PT6_ll16rocsparse_order_21rocsparse_index_base_b.num_agpr, 0
	.set _ZN9rocsparseL29bsrmmnt_small_blockdim_kernelILj64ELj32ELj2EliffffEEv20rocsparse_direction_T3_S2_llNS_24const_host_device_scalarIT7_EEPKT2_PKS2_PKT4_PKT5_llS5_PT6_ll16rocsparse_order_21rocsparse_index_base_b.numbered_sgpr, 26
	.set _ZN9rocsparseL29bsrmmnt_small_blockdim_kernelILj64ELj32ELj2EliffffEEv20rocsparse_direction_T3_S2_llNS_24const_host_device_scalarIT7_EEPKT2_PKS2_PKT4_PKT5_llS5_PT6_ll16rocsparse_order_21rocsparse_index_base_b.num_named_barrier, 0
	.set _ZN9rocsparseL29bsrmmnt_small_blockdim_kernelILj64ELj32ELj2EliffffEEv20rocsparse_direction_T3_S2_llNS_24const_host_device_scalarIT7_EEPKT2_PKS2_PKT4_PKT5_llS5_PT6_ll16rocsparse_order_21rocsparse_index_base_b.private_seg_size, 0
	.set _ZN9rocsparseL29bsrmmnt_small_blockdim_kernelILj64ELj32ELj2EliffffEEv20rocsparse_direction_T3_S2_llNS_24const_host_device_scalarIT7_EEPKT2_PKS2_PKT4_PKT5_llS5_PT6_ll16rocsparse_order_21rocsparse_index_base_b.uses_vcc, 1
	.set _ZN9rocsparseL29bsrmmnt_small_blockdim_kernelILj64ELj32ELj2EliffffEEv20rocsparse_direction_T3_S2_llNS_24const_host_device_scalarIT7_EEPKT2_PKS2_PKT4_PKT5_llS5_PT6_ll16rocsparse_order_21rocsparse_index_base_b.uses_flat_scratch, 0
	.set _ZN9rocsparseL29bsrmmnt_small_blockdim_kernelILj64ELj32ELj2EliffffEEv20rocsparse_direction_T3_S2_llNS_24const_host_device_scalarIT7_EEPKT2_PKS2_PKT4_PKT5_llS5_PT6_ll16rocsparse_order_21rocsparse_index_base_b.has_dyn_sized_stack, 0
	.set _ZN9rocsparseL29bsrmmnt_small_blockdim_kernelILj64ELj32ELj2EliffffEEv20rocsparse_direction_T3_S2_llNS_24const_host_device_scalarIT7_EEPKT2_PKS2_PKT4_PKT5_llS5_PT6_ll16rocsparse_order_21rocsparse_index_base_b.has_recursion, 0
	.set _ZN9rocsparseL29bsrmmnt_small_blockdim_kernelILj64ELj32ELj2EliffffEEv20rocsparse_direction_T3_S2_llNS_24const_host_device_scalarIT7_EEPKT2_PKS2_PKT4_PKT5_llS5_PT6_ll16rocsparse_order_21rocsparse_index_base_b.has_indirect_call, 0
	.section	.AMDGPU.csdata,"",@progbits
; Kernel info:
; codeLenInByte = 1312
; TotalNumSgprs: 28
; NumVgprs: 34
; ScratchSize: 0
; MemoryBound: 0
; FloatMode: 240
; IeeeMode: 1
; LDSByteSize: 1024 bytes/workgroup (compile time only)
; SGPRBlocks: 0
; VGPRBlocks: 2
; NumSGPRsForWavesPerEU: 28
; NumVGPRsForWavesPerEU: 34
; NamedBarCnt: 0
; Occupancy: 16
; WaveLimiterHint : 0
; COMPUTE_PGM_RSRC2:SCRATCH_EN: 0
; COMPUTE_PGM_RSRC2:USER_SGPR: 2
; COMPUTE_PGM_RSRC2:TRAP_HANDLER: 0
; COMPUTE_PGM_RSRC2:TGID_X_EN: 1
; COMPUTE_PGM_RSRC2:TGID_Y_EN: 0
; COMPUTE_PGM_RSRC2:TGID_Z_EN: 0
; COMPUTE_PGM_RSRC2:TIDIG_COMP_CNT: 0
	.section	.text._ZN9rocsparseL29bsrmmnt_small_blockdim_kernelILj64ELj64ELj2EliffffEEv20rocsparse_direction_T3_S2_llNS_24const_host_device_scalarIT7_EEPKT2_PKS2_PKT4_PKT5_llS5_PT6_ll16rocsparse_order_21rocsparse_index_base_b,"axG",@progbits,_ZN9rocsparseL29bsrmmnt_small_blockdim_kernelILj64ELj64ELj2EliffffEEv20rocsparse_direction_T3_S2_llNS_24const_host_device_scalarIT7_EEPKT2_PKS2_PKT4_PKT5_llS5_PT6_ll16rocsparse_order_21rocsparse_index_base_b,comdat
	.globl	_ZN9rocsparseL29bsrmmnt_small_blockdim_kernelILj64ELj64ELj2EliffffEEv20rocsparse_direction_T3_S2_llNS_24const_host_device_scalarIT7_EEPKT2_PKS2_PKT4_PKT5_llS5_PT6_ll16rocsparse_order_21rocsparse_index_base_b ; -- Begin function _ZN9rocsparseL29bsrmmnt_small_blockdim_kernelILj64ELj64ELj2EliffffEEv20rocsparse_direction_T3_S2_llNS_24const_host_device_scalarIT7_EEPKT2_PKS2_PKT4_PKT5_llS5_PT6_ll16rocsparse_order_21rocsparse_index_base_b
	.p2align	8
	.type	_ZN9rocsparseL29bsrmmnt_small_blockdim_kernelILj64ELj64ELj2EliffffEEv20rocsparse_direction_T3_S2_llNS_24const_host_device_scalarIT7_EEPKT2_PKS2_PKT4_PKT5_llS5_PT6_ll16rocsparse_order_21rocsparse_index_base_b,@function
_ZN9rocsparseL29bsrmmnt_small_blockdim_kernelILj64ELj64ELj2EliffffEEv20rocsparse_direction_T3_S2_llNS_24const_host_device_scalarIT7_EEPKT2_PKS2_PKT4_PKT5_llS5_PT6_ll16rocsparse_order_21rocsparse_index_base_b: ; @_ZN9rocsparseL29bsrmmnt_small_blockdim_kernelILj64ELj64ELj2EliffffEEv20rocsparse_direction_T3_S2_llNS_24const_host_device_scalarIT7_EEPKT2_PKS2_PKT4_PKT5_llS5_PT6_ll16rocsparse_order_21rocsparse_index_base_b
; %bb.0:
	s_clause 0x2
	s_load_b96 s[16:18], s[0:1], 0x78
	s_load_b64 s[2:3], s[0:1], 0x20
	s_load_b64 s[24:25], s[0:1], 0x58
	s_wait_kmcnt 0x0
	s_bitcmp1_b32 s18, 0
	s_cselect_b32 s4, -1, 0
	s_delay_alu instid0(SALU_CYCLE_1)
	s_and_b32 vcc_lo, exec_lo, s4
	s_xor_b32 s4, s4, -1
	s_cbranch_vccnz .LBB28_2
; %bb.1:
	s_load_b32 s2, s[2:3], 0x0
.LBB28_2:
	s_and_not1_b32 vcc_lo, exec_lo, s4
	s_cbranch_vccnz .LBB28_4
; %bb.3:
	s_load_b32 s24, s[24:25], 0x0
.LBB28_4:
	s_wait_kmcnt 0x0
	s_cmp_eq_f32 s2, 0
	s_cselect_b32 s3, -1, 0
	s_cmp_eq_f32 s24, 1.0
	s_cselect_b32 s4, -1, 0
	s_delay_alu instid0(SALU_CYCLE_1) | instskip(NEXT) | instid1(SALU_CYCLE_1)
	s_and_b32 s3, s3, s4
	s_and_b32 vcc_lo, exec_lo, s3
	s_cbranch_vccnz .LBB28_30
; %bb.5:
	s_clause 0x1
	s_load_b32 s3, s[0:1], 0x94
	s_load_b96 s[20:22], s[0:1], 0x0
	s_bfe_u32 s4, ttmp6, 0x4000c
	s_and_b32 s5, ttmp6, 15
	s_add_co_i32 s4, s4, 1
	s_getreg_b32 s6, hwreg(HW_REG_IB_STS2, 6, 4)
	s_mul_i32 s4, ttmp9, s4
	s_delay_alu instid0(SALU_CYCLE_1) | instskip(SKIP_4) | instid1(SALU_CYCLE_1)
	s_add_co_i32 s5, s5, s4
	s_wait_kmcnt 0x0
	s_and_b32 s3, s3, 0xffff
	s_cmp_eq_u32 s6, 0
	s_cselect_b32 s4, ttmp9, s5
	v_mad_u32 v2, s4, s3, v0
	s_mov_b32 s3, exec_lo
	s_delay_alu instid0(VALU_DEP_1) | instskip(NEXT) | instid1(VALU_DEP_1)
	v_lshrrev_b32_e32 v1, 7, v2
	v_cmpx_gt_i32_e64 s21, v1
	s_cbranch_execz .LBB28_30
; %bb.6:
	s_cmp_lt_i32 s22, 1
	s_cbranch_scc1 .LBB28_30
; %bb.7:
	s_load_b256 s[4:11], s[0:1], 0x28
	v_dual_lshlrev_b32 v1, 3, v1 :: v_dual_lshrrev_b32 v4, 6, v2
	s_load_b128 s[12:15], s[0:1], 0x60
	v_bfe_u32 v3, v2, 6, 1
	s_cmp_neq_f32 s24, 0
	s_mov_b32 s19, 0
	s_mov_b32 s18, s17
	v_lshl_or_b32 v20, v0, 2, 0x300
	s_cselect_b32 s3, -1, 0
	s_cmp_lg_u32 s16, 1
	v_mul_u32_u24_e32 v21, 12, v0
	s_cselect_b32 s16, -1, 0
	s_cmp_eq_u32 s20, 0
	v_lshlrev_b32_e32 v2, 2, v4
	s_wait_kmcnt 0x0
	global_load_b128 v[8:11], v1, s[4:5]
	s_wait_xcnt 0x0
	v_mov_b32_e32 v1, 0
	s_load_b64 s[4:5], s[0:1], 0x48
	s_wait_xcnt 0x0
	s_cselect_b32 s1, -1, 0
	s_delay_alu instid0(VALU_DEP_1) | instskip(NEXT) | instid1(VALU_DEP_1)
	v_mov_b32_e32 v5, v1
	v_mul_u64_e32 v[12:13], s[14:15], v[4:5]
	v_cndmask_b32_e64 v5, 0, 1, s1
	s_and_b32 s1, s1, exec_lo
	s_delay_alu instid0(VALU_DEP_1) | instskip(SKIP_1) | instid1(VALU_DEP_2)
	v_lshlrev_b32_e32 v4, v5, v3
	v_dual_mov_b32 v3, v1 :: v_dual_mov_b32 v15, v1
	v_lshlrev_b32_e32 v14, 2, v4
	s_delay_alu instid0(VALU_DEP_2)
	v_add_nc_u64_e32 v[2:3], s[12:13], v[2:3]
	s_wait_loadcnt 0x0
	v_sub_nc_u64_e64 v[4:5], v[8:9], s[18:19]
	v_sub_nc_u64_e64 v[6:7], v[10:11], s[18:19]
	v_cmp_lt_i64_e64 s0, v[8:9], v[10:11]
	v_add_nc_u64_e32 v[8:9], s[8:9], v[14:15]
	v_lshl_add_u64 v[10:11], v[12:13], 2, s[12:13]
	s_cselect_b32 s18, 4, 8
	s_mov_b32 s8, s19
	s_branch .LBB28_9
.LBB28_8:                               ;   in Loop: Header=BB28_9 Depth=1
	s_wait_xcnt 0x0
	s_or_b32 exec_lo, exec_lo, s1
	s_add_co_i32 s8, s8, 64
	s_delay_alu instid0(SALU_CYCLE_1)
	s_cmp_lt_i32 s8, s22
	s_cbranch_scc0 .LBB28_30
.LBB28_9:                               ; =>This Loop Header: Depth=1
                                        ;     Child Loop BB28_12 Depth 2
                                        ;       Child Loop BB28_16 Depth 3
	v_dual_mov_b32 v22, 0 :: v_dual_bitop2_b32 v12, s8, v0 bitop3:0x54
	s_delay_alu instid0(VALU_DEP_1)
	v_ashrrev_i32_e32 v13, 31, v12
	s_and_saveexec_b32 s9, s0
	s_cbranch_execz .LBB28_18
; %bb.10:                               ;   in Loop: Header=BB28_9 Depth=1
	v_mov_b64_e32 v[16:17], v[4:5]
	s_delay_alu instid0(VALU_DEP_2)
	v_lshl_add_u64 v[14:15], v[12:13], 2, s[10:11]
	v_mov_b32_e32 v22, 0
	s_mov_b32 s12, 0
	v_cmp_gt_i32_e32 vcc_lo, s22, v12
	s_branch .LBB28_12
.LBB28_11:                              ;   in Loop: Header=BB28_12 Depth=2
	s_or_b32 exec_lo, exec_lo, s1
	v_add_nc_u64_e32 v[16:17], 64, v[16:17]
	s_delay_alu instid0(VALU_DEP_1) | instskip(SKIP_1) | instid1(SALU_CYCLE_1)
	v_cmp_ge_i64_e64 s1, v[16:17], v[6:7]
	s_or_b32 s12, s1, s12
	s_and_not1_b32 exec_lo, exec_lo, s12
	s_cbranch_execz .LBB28_17
.LBB28_12:                              ;   Parent Loop BB28_9 Depth=1
                                        ; =>  This Loop Header: Depth=2
                                        ;       Child Loop BB28_16 Depth 3
	s_delay_alu instid0(VALU_DEP_4) | instskip(SKIP_3) | instid1(VALU_DEP_3)
	v_add_nc_u64_e32 v[18:19], v[16:17], v[0:1]
	v_dual_mov_b32 v25, 0 :: v_dual_mov_b32 v23, 0
	v_mov_b32_e32 v24, 0
	s_mov_b32 s13, exec_lo
	v_cmpx_lt_i64_e64 v[18:19], v[6:7]
	s_cbranch_execz .LBB28_14
; %bb.13:                               ;   in Loop: Header=BB28_12 Depth=2
	v_lshl_add_u64 v[24:25], v[18:19], 2, s[6:7]
	v_lshl_add_u64 v[18:19], v[18:19], 4, v[8:9]
	global_load_b32 v25, v[24:25], off
	v_add_nc_u64_e32 v[26:27], s[18:19], v[18:19]
	s_clause 0x1
	global_load_b32 v23, v[18:19], off
	global_load_b32 v24, v[26:27], off
	s_wait_loadcnt 0x2
	s_wait_xcnt 0x1
	v_subrev_nc_u32_e32 v18, s17, v25
	s_delay_alu instid0(VALU_DEP_1)
	v_lshlrev_b32_e32 v25, 1, v18
.LBB28_14:                              ;   in Loop: Header=BB28_12 Depth=2
	s_wait_xcnt 0x0
	s_or_b32 exec_lo, exec_lo, s13
	ds_store_b32 v20, v25
	s_wait_loadcnt 0x0
	ds_store_2addr_b32 v21, v23, v24 offset1:1
	s_wait_dscnt 0x0
	s_barrier_signal -1
	s_barrier_wait -1
	s_and_saveexec_b32 s1, vcc_lo
	s_cbranch_execz .LBB28_11
; %bb.15:                               ;   in Loop: Header=BB28_12 Depth=2
	v_mov_b32_e32 v18, 0
	s_mov_b32 s13, 0
.LBB28_16:                              ;   Parent Loop BB28_9 Depth=1
                                        ;     Parent Loop BB28_12 Depth=2
                                        ; =>    This Inner Loop Header: Depth=3
	s_delay_alu instid0(SALU_CYCLE_1) | instskip(SKIP_1) | instid1(SALU_CYCLE_1)
	v_add_nc_u32_e64 v19, 0x300, s13
	s_add_co_i32 s13, s13, 8
	s_cmp_lg_u32 s13, 0x100
	ds_load_b64 v[24:25], v19
	s_wait_dscnt 0x0
	v_dual_mov_b32 v26, v24 :: v_dual_ashrrev_i32 v27, 31, v24
	v_dual_add_nc_u32 v28, 1, v24 :: v_dual_ashrrev_i32 v31, 31, v25
	v_mov_b32_e32 v30, v25
	s_wait_kmcnt 0x0
	s_delay_alu instid0(VALU_DEP_3) | instskip(NEXT) | instid1(VALU_DEP_3)
	v_mul_u64_e32 v[26:27], s[4:5], v[26:27]
	v_ashrrev_i32_e32 v29, 31, v28
	s_delay_alu instid0(VALU_DEP_3) | instskip(NEXT) | instid1(VALU_DEP_2)
	v_mul_u64_e32 v[30:31], s[4:5], v[30:31]
	v_mul_u64_e32 v[28:29], s[4:5], v[28:29]
	s_delay_alu instid0(VALU_DEP_4)
	v_lshl_add_u64 v[26:27], v[26:27], 2, v[14:15]
	global_load_b32 v19, v[26:27], off
	s_wait_xcnt 0x0
	v_lshl_add_u64 v[26:27], v[28:29], 2, v[14:15]
	v_lshl_add_u64 v[28:29], v[30:31], 2, v[14:15]
	global_load_b32 v23, v[26:27], off
	v_add_nc_u32_e32 v24, 1, v25
	s_delay_alu instid0(VALU_DEP_1) | instskip(NEXT) | instid1(VALU_DEP_1)
	v_ashrrev_i32_e32 v25, 31, v24
	v_mul_u64_e32 v[24:25], s[4:5], v[24:25]
	s_delay_alu instid0(VALU_DEP_1)
	v_lshl_add_u64 v[24:25], v[24:25], 2, v[14:15]
	s_clause 0x1
	global_load_b32 v30, v[28:29], off
	global_load_b32 v31, v[24:25], off
	s_wait_xcnt 0x0
	ds_load_b64 v[24:25], v18
	ds_load_2addr_b32 v[26:27], v18 offset0:3 offset1:4
	s_wait_loadcnt_dscnt 0x301
	v_fmac_f32_e32 v22, v24, v19
	s_wait_loadcnt 0x2
	s_delay_alu instid0(VALU_DEP_1) | instskip(SKIP_1) | instid1(VALU_DEP_1)
	v_fmac_f32_e32 v22, v25, v23
	s_wait_loadcnt_dscnt 0x100
	v_fmac_f32_e32 v22, v26, v30
	s_wait_loadcnt 0x0
	s_delay_alu instid0(VALU_DEP_1)
	v_dual_add_nc_u32 v18, 24, v18 :: v_dual_fmac_f32 v22, v27, v31
	s_cbranch_scc1 .LBB28_16
	s_branch .LBB28_11
.LBB28_17:                              ;   in Loop: Header=BB28_9 Depth=1
	s_or_b32 exec_lo, exec_lo, s12
.LBB28_18:                              ;   in Loop: Header=BB28_9 Depth=1
	s_delay_alu instid0(SALU_CYCLE_1) | instskip(NEXT) | instid1(SALU_CYCLE_1)
	s_or_b32 exec_lo, exec_lo, s9
	s_mov_b32 s1, exec_lo
	v_cmpx_gt_i32_e64 s22, v12
	s_cbranch_execz .LBB28_8
; %bb.19:                               ;   in Loop: Header=BB28_9 Depth=1
	s_and_b32 vcc_lo, exec_lo, s3
	s_cbranch_vccz .LBB28_25
; %bb.20:                               ;   in Loop: Header=BB28_9 Depth=1
	s_and_b32 vcc_lo, exec_lo, s16
	s_mov_b32 s9, -1
	s_cbranch_vccz .LBB28_22
; %bb.21:                               ;   in Loop: Header=BB28_9 Depth=1
	v_lshl_add_u64 v[14:15], v[12:13], 2, v[10:11]
	v_mul_f32_e32 v17, s2, v22
	s_mov_b32 s9, 0
	global_load_b32 v16, v[14:15], off
	s_wait_loadcnt 0x0
	v_fmac_f32_e32 v17, s24, v16
	global_store_b32 v[14:15], v17, off
.LBB28_22:                              ;   in Loop: Header=BB28_9 Depth=1
	s_and_not1_b32 vcc_lo, exec_lo, s9
	s_cbranch_vccnz .LBB28_24
; %bb.23:                               ;   in Loop: Header=BB28_9 Depth=1
	s_wait_xcnt 0x0
	v_mul_u64_e32 v[14:15], s[14:15], v[12:13]
	v_mul_f32_e32 v17, s2, v22
	s_delay_alu instid0(VALU_DEP_2)
	v_lshl_add_u64 v[14:15], v[14:15], 2, v[2:3]
	global_load_b32 v16, v[14:15], off
	s_wait_loadcnt 0x0
	v_fmac_f32_e32 v17, s24, v16
	global_store_b32 v[14:15], v17, off
.LBB28_24:                              ;   in Loop: Header=BB28_9 Depth=1
	s_cbranch_execnz .LBB28_8
	s_branch .LBB28_26
.LBB28_25:                              ;   in Loop: Header=BB28_9 Depth=1
.LBB28_26:                              ;   in Loop: Header=BB28_9 Depth=1
	s_wait_xcnt 0x0
	v_mul_f32_e32 v14, s2, v22
	s_and_b32 vcc_lo, exec_lo, s16
	s_mov_b32 s9, -1
	s_cbranch_vccz .LBB28_28
; %bb.27:                               ;   in Loop: Header=BB28_9 Depth=1
	v_lshl_add_u64 v[16:17], v[12:13], 2, v[10:11]
	s_mov_b32 s9, 0
	global_store_b32 v[16:17], v14, off
.LBB28_28:                              ;   in Loop: Header=BB28_9 Depth=1
	s_and_not1_b32 vcc_lo, exec_lo, s9
	s_cbranch_vccnz .LBB28_8
; %bb.29:                               ;   in Loop: Header=BB28_9 Depth=1
	v_mul_u64_e32 v[12:13], s[14:15], v[12:13]
	s_delay_alu instid0(VALU_DEP_1)
	v_lshl_add_u64 v[12:13], v[12:13], 2, v[2:3]
	global_store_b32 v[12:13], v14, off
	s_branch .LBB28_8
.LBB28_30:
	s_endpgm
	.section	.rodata,"a",@progbits
	.p2align	6, 0x0
	.amdhsa_kernel _ZN9rocsparseL29bsrmmnt_small_blockdim_kernelILj64ELj64ELj2EliffffEEv20rocsparse_direction_T3_S2_llNS_24const_host_device_scalarIT7_EEPKT2_PKS2_PKT4_PKT5_llS5_PT6_ll16rocsparse_order_21rocsparse_index_base_b
		.amdhsa_group_segment_fixed_size 1024
		.amdhsa_private_segment_fixed_size 0
		.amdhsa_kernarg_size 392
		.amdhsa_user_sgpr_count 2
		.amdhsa_user_sgpr_dispatch_ptr 0
		.amdhsa_user_sgpr_queue_ptr 0
		.amdhsa_user_sgpr_kernarg_segment_ptr 1
		.amdhsa_user_sgpr_dispatch_id 0
		.amdhsa_user_sgpr_kernarg_preload_length 0
		.amdhsa_user_sgpr_kernarg_preload_offset 0
		.amdhsa_user_sgpr_private_segment_size 0
		.amdhsa_wavefront_size32 1
		.amdhsa_uses_dynamic_stack 0
		.amdhsa_enable_private_segment 0
		.amdhsa_system_sgpr_workgroup_id_x 1
		.amdhsa_system_sgpr_workgroup_id_y 0
		.amdhsa_system_sgpr_workgroup_id_z 0
		.amdhsa_system_sgpr_workgroup_info 0
		.amdhsa_system_vgpr_workitem_id 0
		.amdhsa_next_free_vgpr 32
		.amdhsa_next_free_sgpr 26
		.amdhsa_named_barrier_count 0
		.amdhsa_reserve_vcc 1
		.amdhsa_float_round_mode_32 0
		.amdhsa_float_round_mode_16_64 0
		.amdhsa_float_denorm_mode_32 3
		.amdhsa_float_denorm_mode_16_64 3
		.amdhsa_fp16_overflow 0
		.amdhsa_memory_ordered 1
		.amdhsa_forward_progress 1
		.amdhsa_inst_pref_size 11
		.amdhsa_round_robin_scheduling 0
		.amdhsa_exception_fp_ieee_invalid_op 0
		.amdhsa_exception_fp_denorm_src 0
		.amdhsa_exception_fp_ieee_div_zero 0
		.amdhsa_exception_fp_ieee_overflow 0
		.amdhsa_exception_fp_ieee_underflow 0
		.amdhsa_exception_fp_ieee_inexact 0
		.amdhsa_exception_int_div_zero 0
	.end_amdhsa_kernel
	.section	.text._ZN9rocsparseL29bsrmmnt_small_blockdim_kernelILj64ELj64ELj2EliffffEEv20rocsparse_direction_T3_S2_llNS_24const_host_device_scalarIT7_EEPKT2_PKS2_PKT4_PKT5_llS5_PT6_ll16rocsparse_order_21rocsparse_index_base_b,"axG",@progbits,_ZN9rocsparseL29bsrmmnt_small_blockdim_kernelILj64ELj64ELj2EliffffEEv20rocsparse_direction_T3_S2_llNS_24const_host_device_scalarIT7_EEPKT2_PKS2_PKT4_PKT5_llS5_PT6_ll16rocsparse_order_21rocsparse_index_base_b,comdat
.Lfunc_end28:
	.size	_ZN9rocsparseL29bsrmmnt_small_blockdim_kernelILj64ELj64ELj2EliffffEEv20rocsparse_direction_T3_S2_llNS_24const_host_device_scalarIT7_EEPKT2_PKS2_PKT4_PKT5_llS5_PT6_ll16rocsparse_order_21rocsparse_index_base_b, .Lfunc_end28-_ZN9rocsparseL29bsrmmnt_small_blockdim_kernelILj64ELj64ELj2EliffffEEv20rocsparse_direction_T3_S2_llNS_24const_host_device_scalarIT7_EEPKT2_PKS2_PKT4_PKT5_llS5_PT6_ll16rocsparse_order_21rocsparse_index_base_b
                                        ; -- End function
	.set _ZN9rocsparseL29bsrmmnt_small_blockdim_kernelILj64ELj64ELj2EliffffEEv20rocsparse_direction_T3_S2_llNS_24const_host_device_scalarIT7_EEPKT2_PKS2_PKT4_PKT5_llS5_PT6_ll16rocsparse_order_21rocsparse_index_base_b.num_vgpr, 32
	.set _ZN9rocsparseL29bsrmmnt_small_blockdim_kernelILj64ELj64ELj2EliffffEEv20rocsparse_direction_T3_S2_llNS_24const_host_device_scalarIT7_EEPKT2_PKS2_PKT4_PKT5_llS5_PT6_ll16rocsparse_order_21rocsparse_index_base_b.num_agpr, 0
	.set _ZN9rocsparseL29bsrmmnt_small_blockdim_kernelILj64ELj64ELj2EliffffEEv20rocsparse_direction_T3_S2_llNS_24const_host_device_scalarIT7_EEPKT2_PKS2_PKT4_PKT5_llS5_PT6_ll16rocsparse_order_21rocsparse_index_base_b.numbered_sgpr, 26
	.set _ZN9rocsparseL29bsrmmnt_small_blockdim_kernelILj64ELj64ELj2EliffffEEv20rocsparse_direction_T3_S2_llNS_24const_host_device_scalarIT7_EEPKT2_PKS2_PKT4_PKT5_llS5_PT6_ll16rocsparse_order_21rocsparse_index_base_b.num_named_barrier, 0
	.set _ZN9rocsparseL29bsrmmnt_small_blockdim_kernelILj64ELj64ELj2EliffffEEv20rocsparse_direction_T3_S2_llNS_24const_host_device_scalarIT7_EEPKT2_PKS2_PKT4_PKT5_llS5_PT6_ll16rocsparse_order_21rocsparse_index_base_b.private_seg_size, 0
	.set _ZN9rocsparseL29bsrmmnt_small_blockdim_kernelILj64ELj64ELj2EliffffEEv20rocsparse_direction_T3_S2_llNS_24const_host_device_scalarIT7_EEPKT2_PKS2_PKT4_PKT5_llS5_PT6_ll16rocsparse_order_21rocsparse_index_base_b.uses_vcc, 1
	.set _ZN9rocsparseL29bsrmmnt_small_blockdim_kernelILj64ELj64ELj2EliffffEEv20rocsparse_direction_T3_S2_llNS_24const_host_device_scalarIT7_EEPKT2_PKS2_PKT4_PKT5_llS5_PT6_ll16rocsparse_order_21rocsparse_index_base_b.uses_flat_scratch, 0
	.set _ZN9rocsparseL29bsrmmnt_small_blockdim_kernelILj64ELj64ELj2EliffffEEv20rocsparse_direction_T3_S2_llNS_24const_host_device_scalarIT7_EEPKT2_PKS2_PKT4_PKT5_llS5_PT6_ll16rocsparse_order_21rocsparse_index_base_b.has_dyn_sized_stack, 0
	.set _ZN9rocsparseL29bsrmmnt_small_blockdim_kernelILj64ELj64ELj2EliffffEEv20rocsparse_direction_T3_S2_llNS_24const_host_device_scalarIT7_EEPKT2_PKS2_PKT4_PKT5_llS5_PT6_ll16rocsparse_order_21rocsparse_index_base_b.has_recursion, 0
	.set _ZN9rocsparseL29bsrmmnt_small_blockdim_kernelILj64ELj64ELj2EliffffEEv20rocsparse_direction_T3_S2_llNS_24const_host_device_scalarIT7_EEPKT2_PKS2_PKT4_PKT5_llS5_PT6_ll16rocsparse_order_21rocsparse_index_base_b.has_indirect_call, 0
	.section	.AMDGPU.csdata,"",@progbits
; Kernel info:
; codeLenInByte = 1288
; TotalNumSgprs: 28
; NumVgprs: 32
; ScratchSize: 0
; MemoryBound: 0
; FloatMode: 240
; IeeeMode: 1
; LDSByteSize: 1024 bytes/workgroup (compile time only)
; SGPRBlocks: 0
; VGPRBlocks: 1
; NumSGPRsForWavesPerEU: 28
; NumVGPRsForWavesPerEU: 32
; NamedBarCnt: 0
; Occupancy: 16
; WaveLimiterHint : 0
; COMPUTE_PGM_RSRC2:SCRATCH_EN: 0
; COMPUTE_PGM_RSRC2:USER_SGPR: 2
; COMPUTE_PGM_RSRC2:TRAP_HANDLER: 0
; COMPUTE_PGM_RSRC2:TGID_X_EN: 1
; COMPUTE_PGM_RSRC2:TGID_Y_EN: 0
; COMPUTE_PGM_RSRC2:TGID_Z_EN: 0
; COMPUTE_PGM_RSRC2:TIDIG_COMP_CNT: 0
	.section	.text._ZN9rocsparseL29bsrmmnt_small_blockdim_kernelILj64ELj8ELj2EllffffEEv20rocsparse_direction_T3_S2_llNS_24const_host_device_scalarIT7_EEPKT2_PKS2_PKT4_PKT5_llS5_PT6_ll16rocsparse_order_21rocsparse_index_base_b,"axG",@progbits,_ZN9rocsparseL29bsrmmnt_small_blockdim_kernelILj64ELj8ELj2EllffffEEv20rocsparse_direction_T3_S2_llNS_24const_host_device_scalarIT7_EEPKT2_PKS2_PKT4_PKT5_llS5_PT6_ll16rocsparse_order_21rocsparse_index_base_b,comdat
	.globl	_ZN9rocsparseL29bsrmmnt_small_blockdim_kernelILj64ELj8ELj2EllffffEEv20rocsparse_direction_T3_S2_llNS_24const_host_device_scalarIT7_EEPKT2_PKS2_PKT4_PKT5_llS5_PT6_ll16rocsparse_order_21rocsparse_index_base_b ; -- Begin function _ZN9rocsparseL29bsrmmnt_small_blockdim_kernelILj64ELj8ELj2EllffffEEv20rocsparse_direction_T3_S2_llNS_24const_host_device_scalarIT7_EEPKT2_PKS2_PKT4_PKT5_llS5_PT6_ll16rocsparse_order_21rocsparse_index_base_b
	.p2align	8
	.type	_ZN9rocsparseL29bsrmmnt_small_blockdim_kernelILj64ELj8ELj2EllffffEEv20rocsparse_direction_T3_S2_llNS_24const_host_device_scalarIT7_EEPKT2_PKS2_PKT4_PKT5_llS5_PT6_ll16rocsparse_order_21rocsparse_index_base_b,@function
_ZN9rocsparseL29bsrmmnt_small_blockdim_kernelILj64ELj8ELj2EllffffEEv20rocsparse_direction_T3_S2_llNS_24const_host_device_scalarIT7_EEPKT2_PKS2_PKT4_PKT5_llS5_PT6_ll16rocsparse_order_21rocsparse_index_base_b: ; @_ZN9rocsparseL29bsrmmnt_small_blockdim_kernelILj64ELj8ELj2EllffffEEv20rocsparse_direction_T3_S2_llNS_24const_host_device_scalarIT7_EEPKT2_PKS2_PKT4_PKT5_llS5_PT6_ll16rocsparse_order_21rocsparse_index_base_b
; %bb.0:
	s_clause 0x2
	s_load_b96 s[20:22], s[0:1], 0x80
	s_load_b64 s[2:3], s[0:1], 0x28
	s_load_b64 s[24:25], s[0:1], 0x60
	s_wait_kmcnt 0x0
	s_bitcmp1_b32 s22, 0
	s_cselect_b32 s4, -1, 0
	s_delay_alu instid0(SALU_CYCLE_1)
	s_and_b32 vcc_lo, exec_lo, s4
	s_xor_b32 s4, s4, -1
	s_cbranch_vccnz .LBB29_2
; %bb.1:
	s_load_b32 s2, s[2:3], 0x0
.LBB29_2:
	s_and_not1_b32 vcc_lo, exec_lo, s4
	s_cbranch_vccnz .LBB29_4
; %bb.3:
	s_load_b32 s24, s[24:25], 0x0
.LBB29_4:
	s_wait_kmcnt 0x0
	s_cmp_eq_f32 s2, 0
	s_cselect_b32 s3, -1, 0
	s_cmp_eq_f32 s24, 1.0
	s_cselect_b32 s4, -1, 0
	s_delay_alu instid0(SALU_CYCLE_1) | instskip(NEXT) | instid1(SALU_CYCLE_1)
	s_and_b32 s3, s3, s4
	s_and_b32 vcc_lo, exec_lo, s3
	s_cbranch_vccnz .LBB29_30
; %bb.5:
	s_clause 0x1
	s_load_b32 s3, s[0:1], 0x9c
	s_load_b128 s[12:15], s[0:1], 0x8
	s_bfe_u32 s4, ttmp6, 0x4000c
	s_and_b32 s5, ttmp6, 15
	s_add_co_i32 s4, s4, 1
	s_getreg_b32 s6, hwreg(HW_REG_IB_STS2, 6, 4)
	s_mul_i32 s4, ttmp9, s4
	s_delay_alu instid0(SALU_CYCLE_1) | instskip(SKIP_4) | instid1(SALU_CYCLE_1)
	s_add_co_i32 s5, s5, s4
	s_wait_kmcnt 0x0
	s_and_b32 s3, s3, 0xffff
	s_cmp_eq_u32 s6, 0
	s_cselect_b32 s4, ttmp9, s5
	v_mad_u32 v1, s4, s3, v0
	v_mov_b32_e32 v3, 0
	s_mov_b32 s3, exec_lo
	s_delay_alu instid0(VALU_DEP_2) | instskip(NEXT) | instid1(VALU_DEP_1)
	v_lshrrev_b32_e32 v2, 4, v1
	v_cmpx_gt_i64_e64 s[12:13], v[2:3]
	s_cbranch_execz .LBB29_30
; %bb.6:
	v_cmp_lt_i64_e64 s3, s[14:15], 1
	s_and_b32 vcc_lo, exec_lo, s3
	s_cbranch_vccnz .LBB29_30
; %bb.7:
	s_load_b256 s[4:11], s[0:1], 0x30
	v_dual_lshlrev_b32 v2, 3, v2 :: v_dual_lshrrev_b32 v4, 3, v1
	s_load_b128 s[16:19], s[0:1], 0x68
	v_mov_b32_e32 v5, 0
	s_cmp_neq_f32 s24, 0
	s_mov_b32 s13, 0
	s_mov_b32 s12, s21
	s_cselect_b32 s3, -1, 0
	s_cmp_lg_u32 s20, 1
	s_cselect_b32 s22, -1, 0
	s_wait_kmcnt 0x0
	global_load_b128 v[12:15], v2, s[4:5]
	s_wait_xcnt 0x0
	s_load_b64 s[4:5], s[0:1], 0x50
	v_dual_lshrrev_b32 v0, 3, v0 :: v_dual_bitop2_b32 v2, 7, v0 bitop3:0x40
	v_mul_u64_e32 v[6:7], s[18:19], v[4:5]
	v_lshlrev_b32_e32 v4, 2, v4
	s_wait_xcnt 0x0
	s_load_b32 s0, s[0:1], 0x0
	v_mov_b32_e32 v9, v5
	v_lshl_add_u32 v22, v0, 6, 0x300
	v_mul_u32_u24_e32 v23, 0x60, v0
	v_and_b32_e32 v8, 4, v4
	v_mul_u32_u24_e32 v16, 12, v2
	v_add_nc_u64_e32 v[0:1], s[16:17], v[4:5]
	v_lshl_or_b32 v24, v2, 3, v22
	s_delay_alu instid0(VALU_DEP_4) | instskip(NEXT) | instid1(VALU_DEP_4)
	v_add_nc_u64_e32 v[10:11], s[8:9], v[8:9]
	v_add_nc_u32_e32 v25, v23, v16
	s_mov_b32 s9, s13
	s_delay_alu instid0(VALU_DEP_2)
	v_add_nc_u64_e32 v[8:9], v[10:11], v[8:9]
	s_wait_kmcnt 0x0
	s_cmp_eq_u32 s0, 0
	s_cselect_b32 vcc_lo, -1, 0
	s_delay_alu instid0(VALU_DEP_1) | instid1(SALU_CYCLE_1)
	v_dual_mov_b32 v3, v5 :: v_dual_cndmask_b32 v5, v11, v9, vcc_lo
	s_delay_alu instid0(VALU_DEP_2)
	v_cndmask_b32_e32 v4, v10, v8, vcc_lo
	s_and_b32 s1, vcc_lo, exec_lo
	s_cselect_b32 s8, 4, 8
	s_lshl_b64 s[20:21], s[4:5], 2
	v_lshl_add_u64 v[6:7], v[6:7], 2, s[16:17]
	s_mov_b64 s[16:17], 0
	s_wait_loadcnt 0x0
	v_sub_nc_u64_e64 v[8:9], v[12:13], s[12:13]
	v_sub_nc_u64_e64 v[10:11], v[14:15], s[12:13]
	v_cmp_lt_i64_e64 s0, v[12:13], v[14:15]
	s_branch .LBB29_9
.LBB29_8:                               ;   in Loop: Header=BB29_9 Depth=1
	s_wait_xcnt 0x0
	s_or_b32 exec_lo, exec_lo, s1
	s_add_nc_u64 s[16:17], s[16:17], 8
	s_delay_alu instid0(SALU_CYCLE_1)
	v_cmp_lt_i64_e64 s1, s[16:17], s[14:15]
	s_and_b32 vcc_lo, exec_lo, s1
	s_cbranch_vccz .LBB29_30
.LBB29_9:                               ; =>This Loop Header: Depth=1
                                        ;     Child Loop BB29_12 Depth 2
                                        ;       Child Loop BB29_16 Depth 3
	v_dual_mov_b32 v13, s17 :: v_dual_bitop2_b32 v12, s16, v2 bitop3:0x54
	v_mov_b32_e32 v26, 0
	s_delay_alu instid0(VALU_DEP_3)
	s_and_saveexec_b32 s23, s0
	s_cbranch_execz .LBB29_18
; %bb.10:                               ;   in Loop: Header=BB29_9 Depth=1
	v_mov_b64_e32 v[16:17], v[8:9]
	v_lshl_add_u64 v[14:15], v[12:13], 2, s[10:11]
	v_mov_b32_e32 v26, 0
	s_mov_b32 s25, 0
	v_cmp_gt_i64_e32 vcc_lo, s[14:15], v[12:13]
	s_branch .LBB29_12
.LBB29_11:                              ;   in Loop: Header=BB29_12 Depth=2
	s_or_b32 exec_lo, exec_lo, s1
	v_add_nc_u64_e32 v[16:17], 8, v[16:17]
	s_delay_alu instid0(VALU_DEP_1) | instskip(SKIP_1) | instid1(SALU_CYCLE_1)
	v_cmp_ge_i64_e64 s1, v[16:17], v[10:11]
	s_or_b32 s25, s1, s25
	s_and_not1_b32 exec_lo, exec_lo, s25
	s_cbranch_execz .LBB29_17
.LBB29_12:                              ;   Parent Loop BB29_9 Depth=1
                                        ; =>  This Loop Header: Depth=2
                                        ;       Child Loop BB29_16 Depth 3
	s_delay_alu instid0(VALU_DEP_4) | instskip(SKIP_3) | instid1(VALU_DEP_3)
	v_add_nc_u64_e32 v[20:21], v[16:17], v[2:3]
	v_mov_b64_e32 v[18:19], 0
	v_dual_mov_b32 v27, 0 :: v_dual_mov_b32 v28, 0
	s_mov_b32 s26, exec_lo
	v_cmpx_lt_i64_e64 v[20:21], v[10:11]
	s_cbranch_execz .LBB29_14
; %bb.13:                               ;   in Loop: Header=BB29_12 Depth=2
	v_lshl_add_u64 v[18:19], v[20:21], 3, s[6:7]
	v_lshl_add_u64 v[20:21], v[20:21], 4, v[4:5]
	global_load_b64 v[18:19], v[18:19], off
	v_add_nc_u64_e32 v[30:31], s[8:9], v[20:21]
	s_clause 0x1
	global_load_b32 v27, v[20:21], off
	global_load_b32 v28, v[30:31], off
	s_wait_loadcnt 0x2
	s_wait_xcnt 0x2
	v_sub_nc_u64_e64 v[18:19], v[18:19], s[12:13]
	s_delay_alu instid0(VALU_DEP_1)
	v_lshlrev_b64_e32 v[18:19], 1, v[18:19]
.LBB29_14:                              ;   in Loop: Header=BB29_12 Depth=2
	s_wait_xcnt 0x0
	s_or_b32 exec_lo, exec_lo, s26
	ds_store_b64 v24, v[18:19]
	s_wait_loadcnt 0x0
	ds_store_2addr_b32 v25, v27, v28 offset1:1
	s_wait_dscnt 0x0
	s_barrier_signal -1
	s_barrier_wait -1
	s_and_saveexec_b32 s1, vcc_lo
	s_cbranch_execz .LBB29_11
; %bb.15:                               ;   in Loop: Header=BB29_12 Depth=2
	v_mov_b32_e32 v18, v23
	s_mov_b32 s26, 0
.LBB29_16:                              ;   Parent Loop BB29_9 Depth=1
                                        ;     Parent Loop BB29_12 Depth=2
                                        ; =>    This Inner Loop Header: Depth=3
	s_delay_alu instid0(SALU_CYCLE_1) | instskip(SKIP_1) | instid1(SALU_CYCLE_1)
	v_add_nc_u32_e32 v19, s26, v22
	s_add_co_i32 s26, s26, 16
	s_cmp_lg_u32 s26, 64
	ds_load_b128 v[28:31], v19
	s_wait_dscnt 0x0
	v_mul_u64_e32 v[20:21], s[4:5], v[28:29]
	v_mul_u64_e32 v[28:29], s[4:5], v[30:31]
	s_delay_alu instid0(VALU_DEP_2) | instskip(NEXT) | instid1(VALU_DEP_1)
	v_lshl_add_u64 v[20:21], v[20:21], 2, v[14:15]
	v_add_nc_u64_e32 v[30:31], s[20:21], v[20:21]
	s_clause 0x1
	global_load_b32 v19, v[20:21], off
	global_load_b32 v27, v[30:31], off
	s_wait_xcnt 0x1
	v_lshl_add_u64 v[20:21], v[28:29], 2, v[14:15]
	s_delay_alu instid0(VALU_DEP_1)
	v_add_nc_u64_e32 v[28:29], s[20:21], v[20:21]
	s_clause 0x1
	global_load_b32 v30, v[20:21], off
	global_load_b32 v31, v[28:29], off
	s_wait_xcnt 0x1
	ds_load_b64 v[20:21], v18
	s_wait_xcnt 0x0
	ds_load_2addr_b32 v[28:29], v18 offset0:3 offset1:4
	s_wait_loadcnt_dscnt 0x301
	v_dual_add_nc_u32 v18, 24, v18 :: v_dual_fmac_f32 v26, v20, v19
	s_wait_loadcnt 0x2
	s_delay_alu instid0(VALU_DEP_1) | instskip(SKIP_1) | instid1(VALU_DEP_1)
	v_fmac_f32_e32 v26, v21, v27
	s_wait_loadcnt_dscnt 0x100
	v_fmac_f32_e32 v26, v28, v30
	s_wait_loadcnt 0x0
	s_delay_alu instid0(VALU_DEP_1)
	v_fmac_f32_e32 v26, v29, v31
	s_cbranch_scc1 .LBB29_16
	s_branch .LBB29_11
.LBB29_17:                              ;   in Loop: Header=BB29_9 Depth=1
	s_or_b32 exec_lo, exec_lo, s25
.LBB29_18:                              ;   in Loop: Header=BB29_9 Depth=1
	s_delay_alu instid0(SALU_CYCLE_1) | instskip(NEXT) | instid1(SALU_CYCLE_1)
	s_or_b32 exec_lo, exec_lo, s23
	s_mov_b32 s1, exec_lo
	v_cmpx_gt_i64_e64 s[14:15], v[12:13]
	s_cbranch_execz .LBB29_8
; %bb.19:                               ;   in Loop: Header=BB29_9 Depth=1
	s_and_b32 vcc_lo, exec_lo, s3
	s_cbranch_vccz .LBB29_25
; %bb.20:                               ;   in Loop: Header=BB29_9 Depth=1
	s_and_b32 vcc_lo, exec_lo, s22
	s_mov_b32 s23, -1
	s_cbranch_vccz .LBB29_22
; %bb.21:                               ;   in Loop: Header=BB29_9 Depth=1
	v_lshl_add_u64 v[14:15], v[12:13], 2, v[6:7]
	v_mul_f32_e32 v17, s2, v26
	s_mov_b32 s23, 0
	global_load_b32 v16, v[14:15], off
	s_wait_loadcnt 0x0
	v_fmac_f32_e32 v17, s24, v16
	global_store_b32 v[14:15], v17, off
.LBB29_22:                              ;   in Loop: Header=BB29_9 Depth=1
	s_and_not1_b32 vcc_lo, exec_lo, s23
	s_cbranch_vccnz .LBB29_24
; %bb.23:                               ;   in Loop: Header=BB29_9 Depth=1
	s_wait_xcnt 0x0
	v_mul_u64_e32 v[14:15], s[18:19], v[12:13]
	v_mul_f32_e32 v17, s2, v26
	s_delay_alu instid0(VALU_DEP_2)
	v_lshl_add_u64 v[14:15], v[14:15], 2, v[0:1]
	global_load_b32 v16, v[14:15], off
	s_wait_loadcnt 0x0
	v_fmac_f32_e32 v17, s24, v16
	global_store_b32 v[14:15], v17, off
.LBB29_24:                              ;   in Loop: Header=BB29_9 Depth=1
	s_cbranch_execnz .LBB29_8
	s_branch .LBB29_26
.LBB29_25:                              ;   in Loop: Header=BB29_9 Depth=1
.LBB29_26:                              ;   in Loop: Header=BB29_9 Depth=1
	s_wait_xcnt 0x0
	v_mul_f32_e32 v14, s2, v26
	s_and_b32 vcc_lo, exec_lo, s22
	s_mov_b32 s23, -1
	s_cbranch_vccz .LBB29_28
; %bb.27:                               ;   in Loop: Header=BB29_9 Depth=1
	v_lshl_add_u64 v[16:17], v[12:13], 2, v[6:7]
	s_mov_b32 s23, 0
	global_store_b32 v[16:17], v14, off
.LBB29_28:                              ;   in Loop: Header=BB29_9 Depth=1
	s_and_not1_b32 vcc_lo, exec_lo, s23
	s_cbranch_vccnz .LBB29_8
; %bb.29:                               ;   in Loop: Header=BB29_9 Depth=1
	v_mul_u64_e32 v[12:13], s[18:19], v[12:13]
	s_delay_alu instid0(VALU_DEP_1)
	v_lshl_add_u64 v[12:13], v[12:13], 2, v[0:1]
	global_store_b32 v[12:13], v14, off
	s_branch .LBB29_8
.LBB29_30:
	s_endpgm
	.section	.rodata,"a",@progbits
	.p2align	6, 0x0
	.amdhsa_kernel _ZN9rocsparseL29bsrmmnt_small_blockdim_kernelILj64ELj8ELj2EllffffEEv20rocsparse_direction_T3_S2_llNS_24const_host_device_scalarIT7_EEPKT2_PKS2_PKT4_PKT5_llS5_PT6_ll16rocsparse_order_21rocsparse_index_base_b
		.amdhsa_group_segment_fixed_size 1280
		.amdhsa_private_segment_fixed_size 0
		.amdhsa_kernarg_size 400
		.amdhsa_user_sgpr_count 2
		.amdhsa_user_sgpr_dispatch_ptr 0
		.amdhsa_user_sgpr_queue_ptr 0
		.amdhsa_user_sgpr_kernarg_segment_ptr 1
		.amdhsa_user_sgpr_dispatch_id 0
		.amdhsa_user_sgpr_kernarg_preload_length 0
		.amdhsa_user_sgpr_kernarg_preload_offset 0
		.amdhsa_user_sgpr_private_segment_size 0
		.amdhsa_wavefront_size32 1
		.amdhsa_uses_dynamic_stack 0
		.amdhsa_enable_private_segment 0
		.amdhsa_system_sgpr_workgroup_id_x 1
		.amdhsa_system_sgpr_workgroup_id_y 0
		.amdhsa_system_sgpr_workgroup_id_z 0
		.amdhsa_system_sgpr_workgroup_info 0
		.amdhsa_system_vgpr_workitem_id 0
		.amdhsa_next_free_vgpr 32
		.amdhsa_next_free_sgpr 27
		.amdhsa_named_barrier_count 0
		.amdhsa_reserve_vcc 1
		.amdhsa_float_round_mode_32 0
		.amdhsa_float_round_mode_16_64 0
		.amdhsa_float_denorm_mode_32 3
		.amdhsa_float_denorm_mode_16_64 3
		.amdhsa_fp16_overflow 0
		.amdhsa_memory_ordered 1
		.amdhsa_forward_progress 1
		.amdhsa_inst_pref_size 10
		.amdhsa_round_robin_scheduling 0
		.amdhsa_exception_fp_ieee_invalid_op 0
		.amdhsa_exception_fp_denorm_src 0
		.amdhsa_exception_fp_ieee_div_zero 0
		.amdhsa_exception_fp_ieee_overflow 0
		.amdhsa_exception_fp_ieee_underflow 0
		.amdhsa_exception_fp_ieee_inexact 0
		.amdhsa_exception_int_div_zero 0
	.end_amdhsa_kernel
	.section	.text._ZN9rocsparseL29bsrmmnt_small_blockdim_kernelILj64ELj8ELj2EllffffEEv20rocsparse_direction_T3_S2_llNS_24const_host_device_scalarIT7_EEPKT2_PKS2_PKT4_PKT5_llS5_PT6_ll16rocsparse_order_21rocsparse_index_base_b,"axG",@progbits,_ZN9rocsparseL29bsrmmnt_small_blockdim_kernelILj64ELj8ELj2EllffffEEv20rocsparse_direction_T3_S2_llNS_24const_host_device_scalarIT7_EEPKT2_PKS2_PKT4_PKT5_llS5_PT6_ll16rocsparse_order_21rocsparse_index_base_b,comdat
.Lfunc_end29:
	.size	_ZN9rocsparseL29bsrmmnt_small_blockdim_kernelILj64ELj8ELj2EllffffEEv20rocsparse_direction_T3_S2_llNS_24const_host_device_scalarIT7_EEPKT2_PKS2_PKT4_PKT5_llS5_PT6_ll16rocsparse_order_21rocsparse_index_base_b, .Lfunc_end29-_ZN9rocsparseL29bsrmmnt_small_blockdim_kernelILj64ELj8ELj2EllffffEEv20rocsparse_direction_T3_S2_llNS_24const_host_device_scalarIT7_EEPKT2_PKS2_PKT4_PKT5_llS5_PT6_ll16rocsparse_order_21rocsparse_index_base_b
                                        ; -- End function
	.set _ZN9rocsparseL29bsrmmnt_small_blockdim_kernelILj64ELj8ELj2EllffffEEv20rocsparse_direction_T3_S2_llNS_24const_host_device_scalarIT7_EEPKT2_PKS2_PKT4_PKT5_llS5_PT6_ll16rocsparse_order_21rocsparse_index_base_b.num_vgpr, 32
	.set _ZN9rocsparseL29bsrmmnt_small_blockdim_kernelILj64ELj8ELj2EllffffEEv20rocsparse_direction_T3_S2_llNS_24const_host_device_scalarIT7_EEPKT2_PKS2_PKT4_PKT5_llS5_PT6_ll16rocsparse_order_21rocsparse_index_base_b.num_agpr, 0
	.set _ZN9rocsparseL29bsrmmnt_small_blockdim_kernelILj64ELj8ELj2EllffffEEv20rocsparse_direction_T3_S2_llNS_24const_host_device_scalarIT7_EEPKT2_PKS2_PKT4_PKT5_llS5_PT6_ll16rocsparse_order_21rocsparse_index_base_b.numbered_sgpr, 27
	.set _ZN9rocsparseL29bsrmmnt_small_blockdim_kernelILj64ELj8ELj2EllffffEEv20rocsparse_direction_T3_S2_llNS_24const_host_device_scalarIT7_EEPKT2_PKS2_PKT4_PKT5_llS5_PT6_ll16rocsparse_order_21rocsparse_index_base_b.num_named_barrier, 0
	.set _ZN9rocsparseL29bsrmmnt_small_blockdim_kernelILj64ELj8ELj2EllffffEEv20rocsparse_direction_T3_S2_llNS_24const_host_device_scalarIT7_EEPKT2_PKS2_PKT4_PKT5_llS5_PT6_ll16rocsparse_order_21rocsparse_index_base_b.private_seg_size, 0
	.set _ZN9rocsparseL29bsrmmnt_small_blockdim_kernelILj64ELj8ELj2EllffffEEv20rocsparse_direction_T3_S2_llNS_24const_host_device_scalarIT7_EEPKT2_PKS2_PKT4_PKT5_llS5_PT6_ll16rocsparse_order_21rocsparse_index_base_b.uses_vcc, 1
	.set _ZN9rocsparseL29bsrmmnt_small_blockdim_kernelILj64ELj8ELj2EllffffEEv20rocsparse_direction_T3_S2_llNS_24const_host_device_scalarIT7_EEPKT2_PKS2_PKT4_PKT5_llS5_PT6_ll16rocsparse_order_21rocsparse_index_base_b.uses_flat_scratch, 0
	.set _ZN9rocsparseL29bsrmmnt_small_blockdim_kernelILj64ELj8ELj2EllffffEEv20rocsparse_direction_T3_S2_llNS_24const_host_device_scalarIT7_EEPKT2_PKS2_PKT4_PKT5_llS5_PT6_ll16rocsparse_order_21rocsparse_index_base_b.has_dyn_sized_stack, 0
	.set _ZN9rocsparseL29bsrmmnt_small_blockdim_kernelILj64ELj8ELj2EllffffEEv20rocsparse_direction_T3_S2_llNS_24const_host_device_scalarIT7_EEPKT2_PKS2_PKT4_PKT5_llS5_PT6_ll16rocsparse_order_21rocsparse_index_base_b.has_recursion, 0
	.set _ZN9rocsparseL29bsrmmnt_small_blockdim_kernelILj64ELj8ELj2EllffffEEv20rocsparse_direction_T3_S2_llNS_24const_host_device_scalarIT7_EEPKT2_PKS2_PKT4_PKT5_llS5_PT6_ll16rocsparse_order_21rocsparse_index_base_b.has_indirect_call, 0
	.section	.AMDGPU.csdata,"",@progbits
; Kernel info:
; codeLenInByte = 1276
; TotalNumSgprs: 29
; NumVgprs: 32
; ScratchSize: 0
; MemoryBound: 0
; FloatMode: 240
; IeeeMode: 1
; LDSByteSize: 1280 bytes/workgroup (compile time only)
; SGPRBlocks: 0
; VGPRBlocks: 1
; NumSGPRsForWavesPerEU: 29
; NumVGPRsForWavesPerEU: 32
; NamedBarCnt: 0
; Occupancy: 16
; WaveLimiterHint : 1
; COMPUTE_PGM_RSRC2:SCRATCH_EN: 0
; COMPUTE_PGM_RSRC2:USER_SGPR: 2
; COMPUTE_PGM_RSRC2:TRAP_HANDLER: 0
; COMPUTE_PGM_RSRC2:TGID_X_EN: 1
; COMPUTE_PGM_RSRC2:TGID_Y_EN: 0
; COMPUTE_PGM_RSRC2:TGID_Z_EN: 0
; COMPUTE_PGM_RSRC2:TIDIG_COMP_CNT: 0
	.section	.text._ZN9rocsparseL29bsrmmnt_small_blockdim_kernelILj64ELj16ELj2EllffffEEv20rocsparse_direction_T3_S2_llNS_24const_host_device_scalarIT7_EEPKT2_PKS2_PKT4_PKT5_llS5_PT6_ll16rocsparse_order_21rocsparse_index_base_b,"axG",@progbits,_ZN9rocsparseL29bsrmmnt_small_blockdim_kernelILj64ELj16ELj2EllffffEEv20rocsparse_direction_T3_S2_llNS_24const_host_device_scalarIT7_EEPKT2_PKS2_PKT4_PKT5_llS5_PT6_ll16rocsparse_order_21rocsparse_index_base_b,comdat
	.globl	_ZN9rocsparseL29bsrmmnt_small_blockdim_kernelILj64ELj16ELj2EllffffEEv20rocsparse_direction_T3_S2_llNS_24const_host_device_scalarIT7_EEPKT2_PKS2_PKT4_PKT5_llS5_PT6_ll16rocsparse_order_21rocsparse_index_base_b ; -- Begin function _ZN9rocsparseL29bsrmmnt_small_blockdim_kernelILj64ELj16ELj2EllffffEEv20rocsparse_direction_T3_S2_llNS_24const_host_device_scalarIT7_EEPKT2_PKS2_PKT4_PKT5_llS5_PT6_ll16rocsparse_order_21rocsparse_index_base_b
	.p2align	8
	.type	_ZN9rocsparseL29bsrmmnt_small_blockdim_kernelILj64ELj16ELj2EllffffEEv20rocsparse_direction_T3_S2_llNS_24const_host_device_scalarIT7_EEPKT2_PKS2_PKT4_PKT5_llS5_PT6_ll16rocsparse_order_21rocsparse_index_base_b,@function
_ZN9rocsparseL29bsrmmnt_small_blockdim_kernelILj64ELj16ELj2EllffffEEv20rocsparse_direction_T3_S2_llNS_24const_host_device_scalarIT7_EEPKT2_PKS2_PKT4_PKT5_llS5_PT6_ll16rocsparse_order_21rocsparse_index_base_b: ; @_ZN9rocsparseL29bsrmmnt_small_blockdim_kernelILj64ELj16ELj2EllffffEEv20rocsparse_direction_T3_S2_llNS_24const_host_device_scalarIT7_EEPKT2_PKS2_PKT4_PKT5_llS5_PT6_ll16rocsparse_order_21rocsparse_index_base_b
; %bb.0:
	s_clause 0x2
	s_load_b96 s[20:22], s[0:1], 0x80
	s_load_b64 s[2:3], s[0:1], 0x28
	s_load_b64 s[24:25], s[0:1], 0x60
	s_wait_kmcnt 0x0
	s_bitcmp1_b32 s22, 0
	s_cselect_b32 s4, -1, 0
	s_delay_alu instid0(SALU_CYCLE_1)
	s_and_b32 vcc_lo, exec_lo, s4
	s_xor_b32 s4, s4, -1
	s_cbranch_vccnz .LBB30_2
; %bb.1:
	s_load_b32 s2, s[2:3], 0x0
.LBB30_2:
	s_and_not1_b32 vcc_lo, exec_lo, s4
	s_cbranch_vccnz .LBB30_4
; %bb.3:
	s_load_b32 s24, s[24:25], 0x0
.LBB30_4:
	s_wait_kmcnt 0x0
	s_cmp_eq_f32 s2, 0
	s_cselect_b32 s3, -1, 0
	s_cmp_eq_f32 s24, 1.0
	s_cselect_b32 s4, -1, 0
	s_delay_alu instid0(SALU_CYCLE_1) | instskip(NEXT) | instid1(SALU_CYCLE_1)
	s_and_b32 s3, s3, s4
	s_and_b32 vcc_lo, exec_lo, s3
	s_cbranch_vccnz .LBB30_30
; %bb.5:
	s_clause 0x1
	s_load_b32 s3, s[0:1], 0x9c
	s_load_b128 s[12:15], s[0:1], 0x8
	s_bfe_u32 s4, ttmp6, 0x4000c
	s_and_b32 s5, ttmp6, 15
	s_add_co_i32 s4, s4, 1
	s_getreg_b32 s6, hwreg(HW_REG_IB_STS2, 6, 4)
	s_mul_i32 s4, ttmp9, s4
	s_delay_alu instid0(SALU_CYCLE_1) | instskip(SKIP_4) | instid1(SALU_CYCLE_1)
	s_add_co_i32 s5, s5, s4
	s_wait_kmcnt 0x0
	s_and_b32 s3, s3, 0xffff
	s_cmp_eq_u32 s6, 0
	s_cselect_b32 s4, ttmp9, s5
	v_mad_u32 v1, s4, s3, v0
	v_mov_b32_e32 v3, 0
	s_mov_b32 s3, exec_lo
	s_delay_alu instid0(VALU_DEP_2) | instskip(NEXT) | instid1(VALU_DEP_1)
	v_lshrrev_b32_e32 v2, 5, v1
	v_cmpx_gt_i64_e64 s[12:13], v[2:3]
	s_cbranch_execz .LBB30_30
; %bb.6:
	v_cmp_lt_i64_e64 s3, s[14:15], 1
	s_and_b32 vcc_lo, exec_lo, s3
	s_cbranch_vccnz .LBB30_30
; %bb.7:
	s_load_b256 s[4:11], s[0:1], 0x30
	v_dual_lshlrev_b32 v2, 3, v2 :: v_dual_lshrrev_b32 v4, 4, v1
	s_load_b128 s[16:19], s[0:1], 0x68
	v_mov_b32_e32 v5, 0
	s_cmp_neq_f32 s24, 0
	s_mov_b32 s13, 0
	s_mov_b32 s12, s21
	s_cselect_b32 s3, -1, 0
	s_cmp_lg_u32 s20, 1
	s_cselect_b32 s22, -1, 0
	s_wait_kmcnt 0x0
	global_load_b128 v[12:15], v2, s[4:5]
	s_wait_xcnt 0x0
	s_load_b64 s[4:5], s[0:1], 0x50
	v_dual_lshrrev_b32 v0, 4, v0 :: v_dual_bitop2_b32 v2, 15, v0 bitop3:0x40
	v_mul_u64_e32 v[6:7], s[18:19], v[4:5]
	v_lshlrev_b32_e32 v4, 2, v4
	s_wait_xcnt 0x0
	s_load_b32 s0, s[0:1], 0x0
	v_mov_b32_e32 v9, v5
	v_lshl_add_u32 v22, v0, 7, 0x300
	v_mul_u32_u24_e32 v23, 0xc0, v0
	v_and_b32_e32 v8, 4, v4
	v_mul_u32_u24_e32 v16, 12, v2
	v_add_nc_u64_e32 v[0:1], s[16:17], v[4:5]
	v_lshl_or_b32 v24, v2, 3, v22
	s_delay_alu instid0(VALU_DEP_4) | instskip(NEXT) | instid1(VALU_DEP_4)
	v_add_nc_u64_e32 v[10:11], s[8:9], v[8:9]
	v_add_nc_u32_e32 v25, v23, v16
	s_mov_b32 s9, s13
	s_delay_alu instid0(VALU_DEP_2)
	v_add_nc_u64_e32 v[8:9], v[10:11], v[8:9]
	s_wait_kmcnt 0x0
	s_cmp_eq_u32 s0, 0
	s_cselect_b32 vcc_lo, -1, 0
	s_delay_alu instid0(VALU_DEP_1) | instid1(SALU_CYCLE_1)
	v_dual_mov_b32 v3, v5 :: v_dual_cndmask_b32 v5, v11, v9, vcc_lo
	s_delay_alu instid0(VALU_DEP_2)
	v_cndmask_b32_e32 v4, v10, v8, vcc_lo
	s_and_b32 s1, vcc_lo, exec_lo
	s_cselect_b32 s8, 4, 8
	s_lshl_b64 s[20:21], s[4:5], 2
	v_lshl_add_u64 v[6:7], v[6:7], 2, s[16:17]
	s_mov_b64 s[16:17], 0
	s_wait_loadcnt 0x0
	v_sub_nc_u64_e64 v[8:9], v[12:13], s[12:13]
	v_sub_nc_u64_e64 v[10:11], v[14:15], s[12:13]
	v_cmp_lt_i64_e64 s0, v[12:13], v[14:15]
	s_branch .LBB30_9
.LBB30_8:                               ;   in Loop: Header=BB30_9 Depth=1
	s_wait_xcnt 0x0
	s_or_b32 exec_lo, exec_lo, s1
	s_add_nc_u64 s[16:17], s[16:17], 16
	s_delay_alu instid0(SALU_CYCLE_1)
	v_cmp_lt_i64_e64 s1, s[16:17], s[14:15]
	s_and_b32 vcc_lo, exec_lo, s1
	s_cbranch_vccz .LBB30_30
.LBB30_9:                               ; =>This Loop Header: Depth=1
                                        ;     Child Loop BB30_12 Depth 2
                                        ;       Child Loop BB30_16 Depth 3
	v_dual_mov_b32 v13, s17 :: v_dual_bitop2_b32 v12, s16, v2 bitop3:0x54
	v_mov_b32_e32 v26, 0
	s_delay_alu instid0(VALU_DEP_3)
	s_and_saveexec_b32 s23, s0
	s_cbranch_execz .LBB30_18
; %bb.10:                               ;   in Loop: Header=BB30_9 Depth=1
	v_mov_b64_e32 v[16:17], v[8:9]
	v_lshl_add_u64 v[14:15], v[12:13], 2, s[10:11]
	v_mov_b32_e32 v26, 0
	s_mov_b32 s25, 0
	v_cmp_gt_i64_e32 vcc_lo, s[14:15], v[12:13]
	s_branch .LBB30_12
.LBB30_11:                              ;   in Loop: Header=BB30_12 Depth=2
	s_or_b32 exec_lo, exec_lo, s1
	v_add_nc_u64_e32 v[16:17], 16, v[16:17]
	s_delay_alu instid0(VALU_DEP_1) | instskip(SKIP_1) | instid1(SALU_CYCLE_1)
	v_cmp_ge_i64_e64 s1, v[16:17], v[10:11]
	s_or_b32 s25, s1, s25
	s_and_not1_b32 exec_lo, exec_lo, s25
	s_cbranch_execz .LBB30_17
.LBB30_12:                              ;   Parent Loop BB30_9 Depth=1
                                        ; =>  This Loop Header: Depth=2
                                        ;       Child Loop BB30_16 Depth 3
	s_delay_alu instid0(VALU_DEP_4) | instskip(SKIP_3) | instid1(VALU_DEP_3)
	v_add_nc_u64_e32 v[20:21], v[16:17], v[2:3]
	v_mov_b64_e32 v[18:19], 0
	v_dual_mov_b32 v27, 0 :: v_dual_mov_b32 v28, 0
	s_mov_b32 s26, exec_lo
	v_cmpx_lt_i64_e64 v[20:21], v[10:11]
	s_cbranch_execz .LBB30_14
; %bb.13:                               ;   in Loop: Header=BB30_12 Depth=2
	v_lshl_add_u64 v[18:19], v[20:21], 3, s[6:7]
	v_lshl_add_u64 v[20:21], v[20:21], 4, v[4:5]
	global_load_b64 v[18:19], v[18:19], off
	v_add_nc_u64_e32 v[30:31], s[8:9], v[20:21]
	s_clause 0x1
	global_load_b32 v27, v[20:21], off
	global_load_b32 v28, v[30:31], off
	s_wait_loadcnt 0x2
	s_wait_xcnt 0x2
	v_sub_nc_u64_e64 v[18:19], v[18:19], s[12:13]
	s_delay_alu instid0(VALU_DEP_1)
	v_lshlrev_b64_e32 v[18:19], 1, v[18:19]
.LBB30_14:                              ;   in Loop: Header=BB30_12 Depth=2
	s_wait_xcnt 0x0
	s_or_b32 exec_lo, exec_lo, s26
	ds_store_b64 v24, v[18:19]
	s_wait_loadcnt 0x0
	ds_store_2addr_b32 v25, v27, v28 offset1:1
	s_wait_dscnt 0x0
	s_barrier_signal -1
	s_barrier_wait -1
	s_and_saveexec_b32 s1, vcc_lo
	s_cbranch_execz .LBB30_11
; %bb.15:                               ;   in Loop: Header=BB30_12 Depth=2
	v_mov_b32_e32 v18, v23
	s_mov_b32 s26, 0
.LBB30_16:                              ;   Parent Loop BB30_9 Depth=1
                                        ;     Parent Loop BB30_12 Depth=2
                                        ; =>    This Inner Loop Header: Depth=3
	s_delay_alu instid0(SALU_CYCLE_1) | instskip(SKIP_1) | instid1(SALU_CYCLE_1)
	v_add_nc_u32_e32 v19, s26, v22
	s_add_co_i32 s26, s26, 16
	s_cmp_lg_u32 s26, 0x80
	ds_load_b128 v[28:31], v19
	s_wait_dscnt 0x0
	v_mul_u64_e32 v[20:21], s[4:5], v[28:29]
	v_mul_u64_e32 v[28:29], s[4:5], v[30:31]
	s_delay_alu instid0(VALU_DEP_2) | instskip(NEXT) | instid1(VALU_DEP_1)
	v_lshl_add_u64 v[20:21], v[20:21], 2, v[14:15]
	v_add_nc_u64_e32 v[30:31], s[20:21], v[20:21]
	s_clause 0x1
	global_load_b32 v19, v[20:21], off
	global_load_b32 v27, v[30:31], off
	s_wait_xcnt 0x1
	v_lshl_add_u64 v[20:21], v[28:29], 2, v[14:15]
	s_delay_alu instid0(VALU_DEP_1)
	v_add_nc_u64_e32 v[28:29], s[20:21], v[20:21]
	s_clause 0x1
	global_load_b32 v30, v[20:21], off
	global_load_b32 v31, v[28:29], off
	s_wait_xcnt 0x1
	ds_load_b64 v[20:21], v18
	s_wait_xcnt 0x0
	ds_load_2addr_b32 v[28:29], v18 offset0:3 offset1:4
	s_wait_loadcnt_dscnt 0x301
	v_dual_add_nc_u32 v18, 24, v18 :: v_dual_fmac_f32 v26, v20, v19
	s_wait_loadcnt 0x2
	s_delay_alu instid0(VALU_DEP_1) | instskip(SKIP_1) | instid1(VALU_DEP_1)
	v_fmac_f32_e32 v26, v21, v27
	s_wait_loadcnt_dscnt 0x100
	v_fmac_f32_e32 v26, v28, v30
	s_wait_loadcnt 0x0
	s_delay_alu instid0(VALU_DEP_1)
	v_fmac_f32_e32 v26, v29, v31
	s_cbranch_scc1 .LBB30_16
	s_branch .LBB30_11
.LBB30_17:                              ;   in Loop: Header=BB30_9 Depth=1
	s_or_b32 exec_lo, exec_lo, s25
.LBB30_18:                              ;   in Loop: Header=BB30_9 Depth=1
	s_delay_alu instid0(SALU_CYCLE_1) | instskip(NEXT) | instid1(SALU_CYCLE_1)
	s_or_b32 exec_lo, exec_lo, s23
	s_mov_b32 s1, exec_lo
	v_cmpx_gt_i64_e64 s[14:15], v[12:13]
	s_cbranch_execz .LBB30_8
; %bb.19:                               ;   in Loop: Header=BB30_9 Depth=1
	s_and_b32 vcc_lo, exec_lo, s3
	s_cbranch_vccz .LBB30_25
; %bb.20:                               ;   in Loop: Header=BB30_9 Depth=1
	s_and_b32 vcc_lo, exec_lo, s22
	s_mov_b32 s23, -1
	s_cbranch_vccz .LBB30_22
; %bb.21:                               ;   in Loop: Header=BB30_9 Depth=1
	v_lshl_add_u64 v[14:15], v[12:13], 2, v[6:7]
	v_mul_f32_e32 v17, s2, v26
	s_mov_b32 s23, 0
	global_load_b32 v16, v[14:15], off
	s_wait_loadcnt 0x0
	v_fmac_f32_e32 v17, s24, v16
	global_store_b32 v[14:15], v17, off
.LBB30_22:                              ;   in Loop: Header=BB30_9 Depth=1
	s_and_not1_b32 vcc_lo, exec_lo, s23
	s_cbranch_vccnz .LBB30_24
; %bb.23:                               ;   in Loop: Header=BB30_9 Depth=1
	s_wait_xcnt 0x0
	v_mul_u64_e32 v[14:15], s[18:19], v[12:13]
	v_mul_f32_e32 v17, s2, v26
	s_delay_alu instid0(VALU_DEP_2)
	v_lshl_add_u64 v[14:15], v[14:15], 2, v[0:1]
	global_load_b32 v16, v[14:15], off
	s_wait_loadcnt 0x0
	v_fmac_f32_e32 v17, s24, v16
	global_store_b32 v[14:15], v17, off
.LBB30_24:                              ;   in Loop: Header=BB30_9 Depth=1
	s_cbranch_execnz .LBB30_8
	s_branch .LBB30_26
.LBB30_25:                              ;   in Loop: Header=BB30_9 Depth=1
.LBB30_26:                              ;   in Loop: Header=BB30_9 Depth=1
	s_wait_xcnt 0x0
	v_mul_f32_e32 v14, s2, v26
	s_and_b32 vcc_lo, exec_lo, s22
	s_mov_b32 s23, -1
	s_cbranch_vccz .LBB30_28
; %bb.27:                               ;   in Loop: Header=BB30_9 Depth=1
	v_lshl_add_u64 v[16:17], v[12:13], 2, v[6:7]
	s_mov_b32 s23, 0
	global_store_b32 v[16:17], v14, off
.LBB30_28:                              ;   in Loop: Header=BB30_9 Depth=1
	s_and_not1_b32 vcc_lo, exec_lo, s23
	s_cbranch_vccnz .LBB30_8
; %bb.29:                               ;   in Loop: Header=BB30_9 Depth=1
	v_mul_u64_e32 v[12:13], s[18:19], v[12:13]
	s_delay_alu instid0(VALU_DEP_1)
	v_lshl_add_u64 v[12:13], v[12:13], 2, v[0:1]
	global_store_b32 v[12:13], v14, off
	s_branch .LBB30_8
.LBB30_30:
	s_endpgm
	.section	.rodata,"a",@progbits
	.p2align	6, 0x0
	.amdhsa_kernel _ZN9rocsparseL29bsrmmnt_small_blockdim_kernelILj64ELj16ELj2EllffffEEv20rocsparse_direction_T3_S2_llNS_24const_host_device_scalarIT7_EEPKT2_PKS2_PKT4_PKT5_llS5_PT6_ll16rocsparse_order_21rocsparse_index_base_b
		.amdhsa_group_segment_fixed_size 1280
		.amdhsa_private_segment_fixed_size 0
		.amdhsa_kernarg_size 400
		.amdhsa_user_sgpr_count 2
		.amdhsa_user_sgpr_dispatch_ptr 0
		.amdhsa_user_sgpr_queue_ptr 0
		.amdhsa_user_sgpr_kernarg_segment_ptr 1
		.amdhsa_user_sgpr_dispatch_id 0
		.amdhsa_user_sgpr_kernarg_preload_length 0
		.amdhsa_user_sgpr_kernarg_preload_offset 0
		.amdhsa_user_sgpr_private_segment_size 0
		.amdhsa_wavefront_size32 1
		.amdhsa_uses_dynamic_stack 0
		.amdhsa_enable_private_segment 0
		.amdhsa_system_sgpr_workgroup_id_x 1
		.amdhsa_system_sgpr_workgroup_id_y 0
		.amdhsa_system_sgpr_workgroup_id_z 0
		.amdhsa_system_sgpr_workgroup_info 0
		.amdhsa_system_vgpr_workitem_id 0
		.amdhsa_next_free_vgpr 32
		.amdhsa_next_free_sgpr 27
		.amdhsa_named_barrier_count 0
		.amdhsa_reserve_vcc 1
		.amdhsa_float_round_mode_32 0
		.amdhsa_float_round_mode_16_64 0
		.amdhsa_float_denorm_mode_32 3
		.amdhsa_float_denorm_mode_16_64 3
		.amdhsa_fp16_overflow 0
		.amdhsa_memory_ordered 1
		.amdhsa_forward_progress 1
		.amdhsa_inst_pref_size 10
		.amdhsa_round_robin_scheduling 0
		.amdhsa_exception_fp_ieee_invalid_op 0
		.amdhsa_exception_fp_denorm_src 0
		.amdhsa_exception_fp_ieee_div_zero 0
		.amdhsa_exception_fp_ieee_overflow 0
		.amdhsa_exception_fp_ieee_underflow 0
		.amdhsa_exception_fp_ieee_inexact 0
		.amdhsa_exception_int_div_zero 0
	.end_amdhsa_kernel
	.section	.text._ZN9rocsparseL29bsrmmnt_small_blockdim_kernelILj64ELj16ELj2EllffffEEv20rocsparse_direction_T3_S2_llNS_24const_host_device_scalarIT7_EEPKT2_PKS2_PKT4_PKT5_llS5_PT6_ll16rocsparse_order_21rocsparse_index_base_b,"axG",@progbits,_ZN9rocsparseL29bsrmmnt_small_blockdim_kernelILj64ELj16ELj2EllffffEEv20rocsparse_direction_T3_S2_llNS_24const_host_device_scalarIT7_EEPKT2_PKS2_PKT4_PKT5_llS5_PT6_ll16rocsparse_order_21rocsparse_index_base_b,comdat
.Lfunc_end30:
	.size	_ZN9rocsparseL29bsrmmnt_small_blockdim_kernelILj64ELj16ELj2EllffffEEv20rocsparse_direction_T3_S2_llNS_24const_host_device_scalarIT7_EEPKT2_PKS2_PKT4_PKT5_llS5_PT6_ll16rocsparse_order_21rocsparse_index_base_b, .Lfunc_end30-_ZN9rocsparseL29bsrmmnt_small_blockdim_kernelILj64ELj16ELj2EllffffEEv20rocsparse_direction_T3_S2_llNS_24const_host_device_scalarIT7_EEPKT2_PKS2_PKT4_PKT5_llS5_PT6_ll16rocsparse_order_21rocsparse_index_base_b
                                        ; -- End function
	.set _ZN9rocsparseL29bsrmmnt_small_blockdim_kernelILj64ELj16ELj2EllffffEEv20rocsparse_direction_T3_S2_llNS_24const_host_device_scalarIT7_EEPKT2_PKS2_PKT4_PKT5_llS5_PT6_ll16rocsparse_order_21rocsparse_index_base_b.num_vgpr, 32
	.set _ZN9rocsparseL29bsrmmnt_small_blockdim_kernelILj64ELj16ELj2EllffffEEv20rocsparse_direction_T3_S2_llNS_24const_host_device_scalarIT7_EEPKT2_PKS2_PKT4_PKT5_llS5_PT6_ll16rocsparse_order_21rocsparse_index_base_b.num_agpr, 0
	.set _ZN9rocsparseL29bsrmmnt_small_blockdim_kernelILj64ELj16ELj2EllffffEEv20rocsparse_direction_T3_S2_llNS_24const_host_device_scalarIT7_EEPKT2_PKS2_PKT4_PKT5_llS5_PT6_ll16rocsparse_order_21rocsparse_index_base_b.numbered_sgpr, 27
	.set _ZN9rocsparseL29bsrmmnt_small_blockdim_kernelILj64ELj16ELj2EllffffEEv20rocsparse_direction_T3_S2_llNS_24const_host_device_scalarIT7_EEPKT2_PKS2_PKT4_PKT5_llS5_PT6_ll16rocsparse_order_21rocsparse_index_base_b.num_named_barrier, 0
	.set _ZN9rocsparseL29bsrmmnt_small_blockdim_kernelILj64ELj16ELj2EllffffEEv20rocsparse_direction_T3_S2_llNS_24const_host_device_scalarIT7_EEPKT2_PKS2_PKT4_PKT5_llS5_PT6_ll16rocsparse_order_21rocsparse_index_base_b.private_seg_size, 0
	.set _ZN9rocsparseL29bsrmmnt_small_blockdim_kernelILj64ELj16ELj2EllffffEEv20rocsparse_direction_T3_S2_llNS_24const_host_device_scalarIT7_EEPKT2_PKS2_PKT4_PKT5_llS5_PT6_ll16rocsparse_order_21rocsparse_index_base_b.uses_vcc, 1
	.set _ZN9rocsparseL29bsrmmnt_small_blockdim_kernelILj64ELj16ELj2EllffffEEv20rocsparse_direction_T3_S2_llNS_24const_host_device_scalarIT7_EEPKT2_PKS2_PKT4_PKT5_llS5_PT6_ll16rocsparse_order_21rocsparse_index_base_b.uses_flat_scratch, 0
	.set _ZN9rocsparseL29bsrmmnt_small_blockdim_kernelILj64ELj16ELj2EllffffEEv20rocsparse_direction_T3_S2_llNS_24const_host_device_scalarIT7_EEPKT2_PKS2_PKT4_PKT5_llS5_PT6_ll16rocsparse_order_21rocsparse_index_base_b.has_dyn_sized_stack, 0
	.set _ZN9rocsparseL29bsrmmnt_small_blockdim_kernelILj64ELj16ELj2EllffffEEv20rocsparse_direction_T3_S2_llNS_24const_host_device_scalarIT7_EEPKT2_PKS2_PKT4_PKT5_llS5_PT6_ll16rocsparse_order_21rocsparse_index_base_b.has_recursion, 0
	.set _ZN9rocsparseL29bsrmmnt_small_blockdim_kernelILj64ELj16ELj2EllffffEEv20rocsparse_direction_T3_S2_llNS_24const_host_device_scalarIT7_EEPKT2_PKS2_PKT4_PKT5_llS5_PT6_ll16rocsparse_order_21rocsparse_index_base_b.has_indirect_call, 0
	.section	.AMDGPU.csdata,"",@progbits
; Kernel info:
; codeLenInByte = 1280
; TotalNumSgprs: 29
; NumVgprs: 32
; ScratchSize: 0
; MemoryBound: 0
; FloatMode: 240
; IeeeMode: 1
; LDSByteSize: 1280 bytes/workgroup (compile time only)
; SGPRBlocks: 0
; VGPRBlocks: 1
; NumSGPRsForWavesPerEU: 29
; NumVGPRsForWavesPerEU: 32
; NamedBarCnt: 0
; Occupancy: 16
; WaveLimiterHint : 1
; COMPUTE_PGM_RSRC2:SCRATCH_EN: 0
; COMPUTE_PGM_RSRC2:USER_SGPR: 2
; COMPUTE_PGM_RSRC2:TRAP_HANDLER: 0
; COMPUTE_PGM_RSRC2:TGID_X_EN: 1
; COMPUTE_PGM_RSRC2:TGID_Y_EN: 0
; COMPUTE_PGM_RSRC2:TGID_Z_EN: 0
; COMPUTE_PGM_RSRC2:TIDIG_COMP_CNT: 0
	.section	.text._ZN9rocsparseL29bsrmmnt_small_blockdim_kernelILj64ELj32ELj2EllffffEEv20rocsparse_direction_T3_S2_llNS_24const_host_device_scalarIT7_EEPKT2_PKS2_PKT4_PKT5_llS5_PT6_ll16rocsparse_order_21rocsparse_index_base_b,"axG",@progbits,_ZN9rocsparseL29bsrmmnt_small_blockdim_kernelILj64ELj32ELj2EllffffEEv20rocsparse_direction_T3_S2_llNS_24const_host_device_scalarIT7_EEPKT2_PKS2_PKT4_PKT5_llS5_PT6_ll16rocsparse_order_21rocsparse_index_base_b,comdat
	.globl	_ZN9rocsparseL29bsrmmnt_small_blockdim_kernelILj64ELj32ELj2EllffffEEv20rocsparse_direction_T3_S2_llNS_24const_host_device_scalarIT7_EEPKT2_PKS2_PKT4_PKT5_llS5_PT6_ll16rocsparse_order_21rocsparse_index_base_b ; -- Begin function _ZN9rocsparseL29bsrmmnt_small_blockdim_kernelILj64ELj32ELj2EllffffEEv20rocsparse_direction_T3_S2_llNS_24const_host_device_scalarIT7_EEPKT2_PKS2_PKT4_PKT5_llS5_PT6_ll16rocsparse_order_21rocsparse_index_base_b
	.p2align	8
	.type	_ZN9rocsparseL29bsrmmnt_small_blockdim_kernelILj64ELj32ELj2EllffffEEv20rocsparse_direction_T3_S2_llNS_24const_host_device_scalarIT7_EEPKT2_PKS2_PKT4_PKT5_llS5_PT6_ll16rocsparse_order_21rocsparse_index_base_b,@function
_ZN9rocsparseL29bsrmmnt_small_blockdim_kernelILj64ELj32ELj2EllffffEEv20rocsparse_direction_T3_S2_llNS_24const_host_device_scalarIT7_EEPKT2_PKS2_PKT4_PKT5_llS5_PT6_ll16rocsparse_order_21rocsparse_index_base_b: ; @_ZN9rocsparseL29bsrmmnt_small_blockdim_kernelILj64ELj32ELj2EllffffEEv20rocsparse_direction_T3_S2_llNS_24const_host_device_scalarIT7_EEPKT2_PKS2_PKT4_PKT5_llS5_PT6_ll16rocsparse_order_21rocsparse_index_base_b
; %bb.0:
	s_clause 0x2
	s_load_b96 s[20:22], s[0:1], 0x80
	s_load_b64 s[2:3], s[0:1], 0x28
	s_load_b64 s[24:25], s[0:1], 0x60
	s_wait_kmcnt 0x0
	s_bitcmp1_b32 s22, 0
	s_cselect_b32 s4, -1, 0
	s_delay_alu instid0(SALU_CYCLE_1)
	s_and_b32 vcc_lo, exec_lo, s4
	s_xor_b32 s4, s4, -1
	s_cbranch_vccnz .LBB31_2
; %bb.1:
	s_load_b32 s2, s[2:3], 0x0
.LBB31_2:
	s_and_not1_b32 vcc_lo, exec_lo, s4
	s_cbranch_vccnz .LBB31_4
; %bb.3:
	s_load_b32 s24, s[24:25], 0x0
.LBB31_4:
	s_wait_kmcnt 0x0
	s_cmp_eq_f32 s2, 0
	s_cselect_b32 s3, -1, 0
	s_cmp_eq_f32 s24, 1.0
	s_cselect_b32 s4, -1, 0
	s_delay_alu instid0(SALU_CYCLE_1) | instskip(NEXT) | instid1(SALU_CYCLE_1)
	s_and_b32 s3, s3, s4
	s_and_b32 vcc_lo, exec_lo, s3
	s_cbranch_vccnz .LBB31_30
; %bb.5:
	s_clause 0x1
	s_load_b32 s3, s[0:1], 0x9c
	s_load_b128 s[12:15], s[0:1], 0x8
	s_bfe_u32 s4, ttmp6, 0x4000c
	s_and_b32 s5, ttmp6, 15
	s_add_co_i32 s4, s4, 1
	s_getreg_b32 s6, hwreg(HW_REG_IB_STS2, 6, 4)
	s_mul_i32 s4, ttmp9, s4
	s_delay_alu instid0(SALU_CYCLE_1) | instskip(SKIP_4) | instid1(SALU_CYCLE_1)
	s_add_co_i32 s5, s5, s4
	s_wait_kmcnt 0x0
	s_and_b32 s3, s3, 0xffff
	s_cmp_eq_u32 s6, 0
	s_cselect_b32 s4, ttmp9, s5
	v_mad_u32 v1, s4, s3, v0
	v_mov_b32_e32 v3, 0
	s_mov_b32 s3, exec_lo
	s_delay_alu instid0(VALU_DEP_2) | instskip(NEXT) | instid1(VALU_DEP_1)
	v_lshrrev_b32_e32 v2, 6, v1
	v_cmpx_gt_i64_e64 s[12:13], v[2:3]
	s_cbranch_execz .LBB31_30
; %bb.6:
	v_cmp_lt_i64_e64 s3, s[14:15], 1
	s_and_b32 vcc_lo, exec_lo, s3
	s_cbranch_vccnz .LBB31_30
; %bb.7:
	s_load_b256 s[4:11], s[0:1], 0x30
	v_dual_lshlrev_b32 v2, 3, v2 :: v_dual_lshrrev_b32 v4, 5, v1
	s_load_b128 s[16:19], s[0:1], 0x68
	v_mov_b32_e32 v5, 0
	s_cmp_neq_f32 s24, 0
	s_mov_b32 s13, 0
	s_mov_b32 s12, s21
	s_cselect_b32 s3, -1, 0
	s_cmp_lg_u32 s20, 1
	s_cselect_b32 s22, -1, 0
	s_wait_kmcnt 0x0
	global_load_b128 v[12:15], v2, s[4:5]
	s_wait_xcnt 0x0
	s_load_b64 s[4:5], s[0:1], 0x50
	v_dual_lshrrev_b32 v0, 5, v0 :: v_dual_bitop2_b32 v2, 31, v0 bitop3:0x40
	v_mul_u64_e32 v[6:7], s[18:19], v[4:5]
	v_lshlrev_b32_e32 v4, 2, v4
	s_wait_xcnt 0x0
	s_load_b32 s0, s[0:1], 0x0
	v_mov_b32_e32 v9, v5
	v_lshl_add_u32 v22, v0, 8, 0x300
	v_mul_u32_u24_e32 v23, 0x180, v0
	v_and_b32_e32 v8, 4, v4
	v_mul_u32_u24_e32 v16, 12, v2
	v_add_nc_u64_e32 v[0:1], s[16:17], v[4:5]
	v_lshl_or_b32 v24, v2, 3, v22
	s_delay_alu instid0(VALU_DEP_4) | instskip(NEXT) | instid1(VALU_DEP_4)
	v_add_nc_u64_e32 v[10:11], s[8:9], v[8:9]
	v_add_nc_u32_e32 v25, v23, v16
	s_mov_b32 s9, s13
	s_delay_alu instid0(VALU_DEP_2)
	v_add_nc_u64_e32 v[8:9], v[10:11], v[8:9]
	s_wait_kmcnt 0x0
	s_cmp_eq_u32 s0, 0
	s_cselect_b32 vcc_lo, -1, 0
	s_delay_alu instid0(VALU_DEP_1) | instid1(SALU_CYCLE_1)
	v_dual_mov_b32 v3, v5 :: v_dual_cndmask_b32 v5, v11, v9, vcc_lo
	s_delay_alu instid0(VALU_DEP_2)
	v_cndmask_b32_e32 v4, v10, v8, vcc_lo
	s_and_b32 s1, vcc_lo, exec_lo
	s_cselect_b32 s8, 4, 8
	s_lshl_b64 s[20:21], s[4:5], 2
	v_lshl_add_u64 v[6:7], v[6:7], 2, s[16:17]
	s_mov_b64 s[16:17], 0
	s_wait_loadcnt 0x0
	v_sub_nc_u64_e64 v[8:9], v[12:13], s[12:13]
	v_sub_nc_u64_e64 v[10:11], v[14:15], s[12:13]
	v_cmp_lt_i64_e64 s0, v[12:13], v[14:15]
	s_branch .LBB31_9
.LBB31_8:                               ;   in Loop: Header=BB31_9 Depth=1
	s_wait_xcnt 0x0
	s_or_b32 exec_lo, exec_lo, s1
	s_add_nc_u64 s[16:17], s[16:17], 32
	s_delay_alu instid0(SALU_CYCLE_1)
	v_cmp_lt_i64_e64 s1, s[16:17], s[14:15]
	s_and_b32 vcc_lo, exec_lo, s1
	s_cbranch_vccz .LBB31_30
.LBB31_9:                               ; =>This Loop Header: Depth=1
                                        ;     Child Loop BB31_12 Depth 2
                                        ;       Child Loop BB31_16 Depth 3
	v_dual_mov_b32 v13, s17 :: v_dual_bitop2_b32 v12, s16, v2 bitop3:0x54
	v_mov_b32_e32 v26, 0
	s_delay_alu instid0(VALU_DEP_3)
	s_and_saveexec_b32 s23, s0
	s_cbranch_execz .LBB31_18
; %bb.10:                               ;   in Loop: Header=BB31_9 Depth=1
	v_mov_b64_e32 v[16:17], v[8:9]
	v_lshl_add_u64 v[14:15], v[12:13], 2, s[10:11]
	v_mov_b32_e32 v26, 0
	s_mov_b32 s25, 0
	v_cmp_gt_i64_e32 vcc_lo, s[14:15], v[12:13]
	s_branch .LBB31_12
.LBB31_11:                              ;   in Loop: Header=BB31_12 Depth=2
	s_or_b32 exec_lo, exec_lo, s1
	v_add_nc_u64_e32 v[16:17], 32, v[16:17]
	s_delay_alu instid0(VALU_DEP_1) | instskip(SKIP_1) | instid1(SALU_CYCLE_1)
	v_cmp_ge_i64_e64 s1, v[16:17], v[10:11]
	s_or_b32 s25, s1, s25
	s_and_not1_b32 exec_lo, exec_lo, s25
	s_cbranch_execz .LBB31_17
.LBB31_12:                              ;   Parent Loop BB31_9 Depth=1
                                        ; =>  This Loop Header: Depth=2
                                        ;       Child Loop BB31_16 Depth 3
	s_delay_alu instid0(VALU_DEP_4) | instskip(SKIP_3) | instid1(VALU_DEP_3)
	v_add_nc_u64_e32 v[20:21], v[16:17], v[2:3]
	v_mov_b64_e32 v[18:19], 0
	v_dual_mov_b32 v27, 0 :: v_dual_mov_b32 v28, 0
	s_mov_b32 s26, exec_lo
	v_cmpx_lt_i64_e64 v[20:21], v[10:11]
	s_cbranch_execz .LBB31_14
; %bb.13:                               ;   in Loop: Header=BB31_12 Depth=2
	v_lshl_add_u64 v[18:19], v[20:21], 3, s[6:7]
	v_lshl_add_u64 v[20:21], v[20:21], 4, v[4:5]
	global_load_b64 v[18:19], v[18:19], off
	v_add_nc_u64_e32 v[30:31], s[8:9], v[20:21]
	s_clause 0x1
	global_load_b32 v27, v[20:21], off
	global_load_b32 v28, v[30:31], off
	s_wait_loadcnt 0x2
	s_wait_xcnt 0x2
	v_sub_nc_u64_e64 v[18:19], v[18:19], s[12:13]
	s_delay_alu instid0(VALU_DEP_1)
	v_lshlrev_b64_e32 v[18:19], 1, v[18:19]
.LBB31_14:                              ;   in Loop: Header=BB31_12 Depth=2
	s_wait_xcnt 0x0
	s_or_b32 exec_lo, exec_lo, s26
	ds_store_b64 v24, v[18:19]
	s_wait_loadcnt 0x0
	ds_store_2addr_b32 v25, v27, v28 offset1:1
	s_wait_dscnt 0x0
	s_barrier_signal -1
	s_barrier_wait -1
	s_and_saveexec_b32 s1, vcc_lo
	s_cbranch_execz .LBB31_11
; %bb.15:                               ;   in Loop: Header=BB31_12 Depth=2
	v_mov_b32_e32 v18, v23
	s_mov_b32 s26, 0
.LBB31_16:                              ;   Parent Loop BB31_9 Depth=1
                                        ;     Parent Loop BB31_12 Depth=2
                                        ; =>    This Inner Loop Header: Depth=3
	s_delay_alu instid0(SALU_CYCLE_1) | instskip(SKIP_1) | instid1(SALU_CYCLE_1)
	v_add_nc_u32_e32 v19, s26, v22
	s_add_co_i32 s26, s26, 16
	s_cmp_lg_u32 s26, 0x100
	ds_load_b128 v[28:31], v19
	s_wait_dscnt 0x0
	v_mul_u64_e32 v[20:21], s[4:5], v[28:29]
	v_mul_u64_e32 v[28:29], s[4:5], v[30:31]
	s_delay_alu instid0(VALU_DEP_2) | instskip(NEXT) | instid1(VALU_DEP_1)
	v_lshl_add_u64 v[20:21], v[20:21], 2, v[14:15]
	v_add_nc_u64_e32 v[30:31], s[20:21], v[20:21]
	s_clause 0x1
	global_load_b32 v19, v[20:21], off
	global_load_b32 v27, v[30:31], off
	s_wait_xcnt 0x1
	v_lshl_add_u64 v[20:21], v[28:29], 2, v[14:15]
	s_delay_alu instid0(VALU_DEP_1)
	v_add_nc_u64_e32 v[28:29], s[20:21], v[20:21]
	s_clause 0x1
	global_load_b32 v30, v[20:21], off
	global_load_b32 v31, v[28:29], off
	s_wait_xcnt 0x1
	ds_load_b64 v[20:21], v18
	s_wait_xcnt 0x0
	ds_load_2addr_b32 v[28:29], v18 offset0:3 offset1:4
	s_wait_loadcnt_dscnt 0x301
	v_dual_add_nc_u32 v18, 24, v18 :: v_dual_fmac_f32 v26, v20, v19
	s_wait_loadcnt 0x2
	s_delay_alu instid0(VALU_DEP_1) | instskip(SKIP_1) | instid1(VALU_DEP_1)
	v_fmac_f32_e32 v26, v21, v27
	s_wait_loadcnt_dscnt 0x100
	v_fmac_f32_e32 v26, v28, v30
	s_wait_loadcnt 0x0
	s_delay_alu instid0(VALU_DEP_1)
	v_fmac_f32_e32 v26, v29, v31
	s_cbranch_scc1 .LBB31_16
	s_branch .LBB31_11
.LBB31_17:                              ;   in Loop: Header=BB31_9 Depth=1
	s_or_b32 exec_lo, exec_lo, s25
.LBB31_18:                              ;   in Loop: Header=BB31_9 Depth=1
	s_delay_alu instid0(SALU_CYCLE_1) | instskip(NEXT) | instid1(SALU_CYCLE_1)
	s_or_b32 exec_lo, exec_lo, s23
	s_mov_b32 s1, exec_lo
	v_cmpx_gt_i64_e64 s[14:15], v[12:13]
	s_cbranch_execz .LBB31_8
; %bb.19:                               ;   in Loop: Header=BB31_9 Depth=1
	s_and_b32 vcc_lo, exec_lo, s3
	s_cbranch_vccz .LBB31_25
; %bb.20:                               ;   in Loop: Header=BB31_9 Depth=1
	s_and_b32 vcc_lo, exec_lo, s22
	s_mov_b32 s23, -1
	s_cbranch_vccz .LBB31_22
; %bb.21:                               ;   in Loop: Header=BB31_9 Depth=1
	v_lshl_add_u64 v[14:15], v[12:13], 2, v[6:7]
	v_mul_f32_e32 v17, s2, v26
	s_mov_b32 s23, 0
	global_load_b32 v16, v[14:15], off
	s_wait_loadcnt 0x0
	v_fmac_f32_e32 v17, s24, v16
	global_store_b32 v[14:15], v17, off
.LBB31_22:                              ;   in Loop: Header=BB31_9 Depth=1
	s_and_not1_b32 vcc_lo, exec_lo, s23
	s_cbranch_vccnz .LBB31_24
; %bb.23:                               ;   in Loop: Header=BB31_9 Depth=1
	s_wait_xcnt 0x0
	v_mul_u64_e32 v[14:15], s[18:19], v[12:13]
	v_mul_f32_e32 v17, s2, v26
	s_delay_alu instid0(VALU_DEP_2)
	v_lshl_add_u64 v[14:15], v[14:15], 2, v[0:1]
	global_load_b32 v16, v[14:15], off
	s_wait_loadcnt 0x0
	v_fmac_f32_e32 v17, s24, v16
	global_store_b32 v[14:15], v17, off
.LBB31_24:                              ;   in Loop: Header=BB31_9 Depth=1
	s_cbranch_execnz .LBB31_8
	s_branch .LBB31_26
.LBB31_25:                              ;   in Loop: Header=BB31_9 Depth=1
.LBB31_26:                              ;   in Loop: Header=BB31_9 Depth=1
	s_wait_xcnt 0x0
	v_mul_f32_e32 v14, s2, v26
	s_and_b32 vcc_lo, exec_lo, s22
	s_mov_b32 s23, -1
	s_cbranch_vccz .LBB31_28
; %bb.27:                               ;   in Loop: Header=BB31_9 Depth=1
	v_lshl_add_u64 v[16:17], v[12:13], 2, v[6:7]
	s_mov_b32 s23, 0
	global_store_b32 v[16:17], v14, off
.LBB31_28:                              ;   in Loop: Header=BB31_9 Depth=1
	s_and_not1_b32 vcc_lo, exec_lo, s23
	s_cbranch_vccnz .LBB31_8
; %bb.29:                               ;   in Loop: Header=BB31_9 Depth=1
	v_mul_u64_e32 v[12:13], s[18:19], v[12:13]
	s_delay_alu instid0(VALU_DEP_1)
	v_lshl_add_u64 v[12:13], v[12:13], 2, v[0:1]
	global_store_b32 v[12:13], v14, off
	s_branch .LBB31_8
.LBB31_30:
	s_endpgm
	.section	.rodata,"a",@progbits
	.p2align	6, 0x0
	.amdhsa_kernel _ZN9rocsparseL29bsrmmnt_small_blockdim_kernelILj64ELj32ELj2EllffffEEv20rocsparse_direction_T3_S2_llNS_24const_host_device_scalarIT7_EEPKT2_PKS2_PKT4_PKT5_llS5_PT6_ll16rocsparse_order_21rocsparse_index_base_b
		.amdhsa_group_segment_fixed_size 1280
		.amdhsa_private_segment_fixed_size 0
		.amdhsa_kernarg_size 400
		.amdhsa_user_sgpr_count 2
		.amdhsa_user_sgpr_dispatch_ptr 0
		.amdhsa_user_sgpr_queue_ptr 0
		.amdhsa_user_sgpr_kernarg_segment_ptr 1
		.amdhsa_user_sgpr_dispatch_id 0
		.amdhsa_user_sgpr_kernarg_preload_length 0
		.amdhsa_user_sgpr_kernarg_preload_offset 0
		.amdhsa_user_sgpr_private_segment_size 0
		.amdhsa_wavefront_size32 1
		.amdhsa_uses_dynamic_stack 0
		.amdhsa_enable_private_segment 0
		.amdhsa_system_sgpr_workgroup_id_x 1
		.amdhsa_system_sgpr_workgroup_id_y 0
		.amdhsa_system_sgpr_workgroup_id_z 0
		.amdhsa_system_sgpr_workgroup_info 0
		.amdhsa_system_vgpr_workitem_id 0
		.amdhsa_next_free_vgpr 32
		.amdhsa_next_free_sgpr 27
		.amdhsa_named_barrier_count 0
		.amdhsa_reserve_vcc 1
		.amdhsa_float_round_mode_32 0
		.amdhsa_float_round_mode_16_64 0
		.amdhsa_float_denorm_mode_32 3
		.amdhsa_float_denorm_mode_16_64 3
		.amdhsa_fp16_overflow 0
		.amdhsa_memory_ordered 1
		.amdhsa_forward_progress 1
		.amdhsa_inst_pref_size 10
		.amdhsa_round_robin_scheduling 0
		.amdhsa_exception_fp_ieee_invalid_op 0
		.amdhsa_exception_fp_denorm_src 0
		.amdhsa_exception_fp_ieee_div_zero 0
		.amdhsa_exception_fp_ieee_overflow 0
		.amdhsa_exception_fp_ieee_underflow 0
		.amdhsa_exception_fp_ieee_inexact 0
		.amdhsa_exception_int_div_zero 0
	.end_amdhsa_kernel
	.section	.text._ZN9rocsparseL29bsrmmnt_small_blockdim_kernelILj64ELj32ELj2EllffffEEv20rocsparse_direction_T3_S2_llNS_24const_host_device_scalarIT7_EEPKT2_PKS2_PKT4_PKT5_llS5_PT6_ll16rocsparse_order_21rocsparse_index_base_b,"axG",@progbits,_ZN9rocsparseL29bsrmmnt_small_blockdim_kernelILj64ELj32ELj2EllffffEEv20rocsparse_direction_T3_S2_llNS_24const_host_device_scalarIT7_EEPKT2_PKS2_PKT4_PKT5_llS5_PT6_ll16rocsparse_order_21rocsparse_index_base_b,comdat
.Lfunc_end31:
	.size	_ZN9rocsparseL29bsrmmnt_small_blockdim_kernelILj64ELj32ELj2EllffffEEv20rocsparse_direction_T3_S2_llNS_24const_host_device_scalarIT7_EEPKT2_PKS2_PKT4_PKT5_llS5_PT6_ll16rocsparse_order_21rocsparse_index_base_b, .Lfunc_end31-_ZN9rocsparseL29bsrmmnt_small_blockdim_kernelILj64ELj32ELj2EllffffEEv20rocsparse_direction_T3_S2_llNS_24const_host_device_scalarIT7_EEPKT2_PKS2_PKT4_PKT5_llS5_PT6_ll16rocsparse_order_21rocsparse_index_base_b
                                        ; -- End function
	.set _ZN9rocsparseL29bsrmmnt_small_blockdim_kernelILj64ELj32ELj2EllffffEEv20rocsparse_direction_T3_S2_llNS_24const_host_device_scalarIT7_EEPKT2_PKS2_PKT4_PKT5_llS5_PT6_ll16rocsparse_order_21rocsparse_index_base_b.num_vgpr, 32
	.set _ZN9rocsparseL29bsrmmnt_small_blockdim_kernelILj64ELj32ELj2EllffffEEv20rocsparse_direction_T3_S2_llNS_24const_host_device_scalarIT7_EEPKT2_PKS2_PKT4_PKT5_llS5_PT6_ll16rocsparse_order_21rocsparse_index_base_b.num_agpr, 0
	.set _ZN9rocsparseL29bsrmmnt_small_blockdim_kernelILj64ELj32ELj2EllffffEEv20rocsparse_direction_T3_S2_llNS_24const_host_device_scalarIT7_EEPKT2_PKS2_PKT4_PKT5_llS5_PT6_ll16rocsparse_order_21rocsparse_index_base_b.numbered_sgpr, 27
	.set _ZN9rocsparseL29bsrmmnt_small_blockdim_kernelILj64ELj32ELj2EllffffEEv20rocsparse_direction_T3_S2_llNS_24const_host_device_scalarIT7_EEPKT2_PKS2_PKT4_PKT5_llS5_PT6_ll16rocsparse_order_21rocsparse_index_base_b.num_named_barrier, 0
	.set _ZN9rocsparseL29bsrmmnt_small_blockdim_kernelILj64ELj32ELj2EllffffEEv20rocsparse_direction_T3_S2_llNS_24const_host_device_scalarIT7_EEPKT2_PKS2_PKT4_PKT5_llS5_PT6_ll16rocsparse_order_21rocsparse_index_base_b.private_seg_size, 0
	.set _ZN9rocsparseL29bsrmmnt_small_blockdim_kernelILj64ELj32ELj2EllffffEEv20rocsparse_direction_T3_S2_llNS_24const_host_device_scalarIT7_EEPKT2_PKS2_PKT4_PKT5_llS5_PT6_ll16rocsparse_order_21rocsparse_index_base_b.uses_vcc, 1
	.set _ZN9rocsparseL29bsrmmnt_small_blockdim_kernelILj64ELj32ELj2EllffffEEv20rocsparse_direction_T3_S2_llNS_24const_host_device_scalarIT7_EEPKT2_PKS2_PKT4_PKT5_llS5_PT6_ll16rocsparse_order_21rocsparse_index_base_b.uses_flat_scratch, 0
	.set _ZN9rocsparseL29bsrmmnt_small_blockdim_kernelILj64ELj32ELj2EllffffEEv20rocsparse_direction_T3_S2_llNS_24const_host_device_scalarIT7_EEPKT2_PKS2_PKT4_PKT5_llS5_PT6_ll16rocsparse_order_21rocsparse_index_base_b.has_dyn_sized_stack, 0
	.set _ZN9rocsparseL29bsrmmnt_small_blockdim_kernelILj64ELj32ELj2EllffffEEv20rocsparse_direction_T3_S2_llNS_24const_host_device_scalarIT7_EEPKT2_PKS2_PKT4_PKT5_llS5_PT6_ll16rocsparse_order_21rocsparse_index_base_b.has_recursion, 0
	.set _ZN9rocsparseL29bsrmmnt_small_blockdim_kernelILj64ELj32ELj2EllffffEEv20rocsparse_direction_T3_S2_llNS_24const_host_device_scalarIT7_EEPKT2_PKS2_PKT4_PKT5_llS5_PT6_ll16rocsparse_order_21rocsparse_index_base_b.has_indirect_call, 0
	.section	.AMDGPU.csdata,"",@progbits
; Kernel info:
; codeLenInByte = 1280
; TotalNumSgprs: 29
; NumVgprs: 32
; ScratchSize: 0
; MemoryBound: 0
; FloatMode: 240
; IeeeMode: 1
; LDSByteSize: 1280 bytes/workgroup (compile time only)
; SGPRBlocks: 0
; VGPRBlocks: 1
; NumSGPRsForWavesPerEU: 29
; NumVGPRsForWavesPerEU: 32
; NamedBarCnt: 0
; Occupancy: 16
; WaveLimiterHint : 1
; COMPUTE_PGM_RSRC2:SCRATCH_EN: 0
; COMPUTE_PGM_RSRC2:USER_SGPR: 2
; COMPUTE_PGM_RSRC2:TRAP_HANDLER: 0
; COMPUTE_PGM_RSRC2:TGID_X_EN: 1
; COMPUTE_PGM_RSRC2:TGID_Y_EN: 0
; COMPUTE_PGM_RSRC2:TGID_Z_EN: 0
; COMPUTE_PGM_RSRC2:TIDIG_COMP_CNT: 0
	.section	.text._ZN9rocsparseL29bsrmmnt_small_blockdim_kernelILj64ELj64ELj2EllffffEEv20rocsparse_direction_T3_S2_llNS_24const_host_device_scalarIT7_EEPKT2_PKS2_PKT4_PKT5_llS5_PT6_ll16rocsparse_order_21rocsparse_index_base_b,"axG",@progbits,_ZN9rocsparseL29bsrmmnt_small_blockdim_kernelILj64ELj64ELj2EllffffEEv20rocsparse_direction_T3_S2_llNS_24const_host_device_scalarIT7_EEPKT2_PKS2_PKT4_PKT5_llS5_PT6_ll16rocsparse_order_21rocsparse_index_base_b,comdat
	.globl	_ZN9rocsparseL29bsrmmnt_small_blockdim_kernelILj64ELj64ELj2EllffffEEv20rocsparse_direction_T3_S2_llNS_24const_host_device_scalarIT7_EEPKT2_PKS2_PKT4_PKT5_llS5_PT6_ll16rocsparse_order_21rocsparse_index_base_b ; -- Begin function _ZN9rocsparseL29bsrmmnt_small_blockdim_kernelILj64ELj64ELj2EllffffEEv20rocsparse_direction_T3_S2_llNS_24const_host_device_scalarIT7_EEPKT2_PKS2_PKT4_PKT5_llS5_PT6_ll16rocsparse_order_21rocsparse_index_base_b
	.p2align	8
	.type	_ZN9rocsparseL29bsrmmnt_small_blockdim_kernelILj64ELj64ELj2EllffffEEv20rocsparse_direction_T3_S2_llNS_24const_host_device_scalarIT7_EEPKT2_PKS2_PKT4_PKT5_llS5_PT6_ll16rocsparse_order_21rocsparse_index_base_b,@function
_ZN9rocsparseL29bsrmmnt_small_blockdim_kernelILj64ELj64ELj2EllffffEEv20rocsparse_direction_T3_S2_llNS_24const_host_device_scalarIT7_EEPKT2_PKS2_PKT4_PKT5_llS5_PT6_ll16rocsparse_order_21rocsparse_index_base_b: ; @_ZN9rocsparseL29bsrmmnt_small_blockdim_kernelILj64ELj64ELj2EllffffEEv20rocsparse_direction_T3_S2_llNS_24const_host_device_scalarIT7_EEPKT2_PKS2_PKT4_PKT5_llS5_PT6_ll16rocsparse_order_21rocsparse_index_base_b
; %bb.0:
	s_clause 0x2
	s_load_b96 s[20:22], s[0:1], 0x80
	s_load_b64 s[2:3], s[0:1], 0x28
	s_load_b64 s[24:25], s[0:1], 0x60
	s_wait_kmcnt 0x0
	s_bitcmp1_b32 s22, 0
	s_cselect_b32 s4, -1, 0
	s_delay_alu instid0(SALU_CYCLE_1)
	s_and_b32 vcc_lo, exec_lo, s4
	s_xor_b32 s4, s4, -1
	s_cbranch_vccnz .LBB32_2
; %bb.1:
	s_load_b32 s2, s[2:3], 0x0
.LBB32_2:
	s_and_not1_b32 vcc_lo, exec_lo, s4
	s_cbranch_vccnz .LBB32_4
; %bb.3:
	s_load_b32 s24, s[24:25], 0x0
.LBB32_4:
	s_wait_kmcnt 0x0
	s_cmp_eq_f32 s2, 0
	s_cselect_b32 s3, -1, 0
	s_cmp_eq_f32 s24, 1.0
	s_cselect_b32 s4, -1, 0
	s_delay_alu instid0(SALU_CYCLE_1) | instskip(NEXT) | instid1(SALU_CYCLE_1)
	s_and_b32 s3, s3, s4
	s_and_b32 vcc_lo, exec_lo, s3
	s_cbranch_vccnz .LBB32_30
; %bb.5:
	s_clause 0x1
	s_load_b32 s3, s[0:1], 0x9c
	s_load_b128 s[12:15], s[0:1], 0x8
	s_bfe_u32 s4, ttmp6, 0x4000c
	s_and_b32 s5, ttmp6, 15
	s_add_co_i32 s4, s4, 1
	s_getreg_b32 s6, hwreg(HW_REG_IB_STS2, 6, 4)
	s_mul_i32 s4, ttmp9, s4
	s_delay_alu instid0(SALU_CYCLE_1) | instskip(SKIP_4) | instid1(SALU_CYCLE_1)
	s_add_co_i32 s5, s5, s4
	s_wait_kmcnt 0x0
	s_and_b32 s3, s3, 0xffff
	s_cmp_eq_u32 s6, 0
	s_cselect_b32 s4, ttmp9, s5
	v_mad_u32 v1, s4, s3, v0
	v_mov_b32_e32 v3, 0
	s_mov_b32 s3, exec_lo
	s_delay_alu instid0(VALU_DEP_2) | instskip(NEXT) | instid1(VALU_DEP_1)
	v_lshrrev_b32_e32 v2, 7, v1
	v_cmpx_gt_i64_e64 s[12:13], v[2:3]
	s_cbranch_execz .LBB32_30
; %bb.6:
	v_cmp_lt_i64_e64 s3, s[14:15], 1
	s_and_b32 vcc_lo, exec_lo, s3
	s_cbranch_vccnz .LBB32_30
; %bb.7:
	s_load_b256 s[4:11], s[0:1], 0x30
	v_dual_mov_b32 v3, 0 :: v_dual_lshlrev_b32 v2, 3, v2
	s_load_b128 s[16:19], s[0:1], 0x68
	s_cmp_neq_f32 s24, 0
	s_mov_b32 s13, 0
	s_mov_b32 s12, s21
	v_lshl_add_u32 v22, v0, 3, 0x300
	s_cselect_b32 s3, -1, 0
	s_cmp_lg_u32 s20, 1
	v_mul_u32_u24_e32 v23, 12, v0
	s_cselect_b32 s22, -1, 0
	v_dual_mov_b32 v9, v3 :: v_dual_mov_b32 v5, v3
	s_wait_kmcnt 0x0
	global_load_b128 v[12:15], v2, s[4:5]
	s_wait_xcnt 0x0
	v_lshrrev_b32_e32 v2, 6, v1
	s_load_b64 s[4:5], s[0:1], 0x50
	v_mov_b32_e32 v1, v3
	s_wait_xcnt 0x0
	s_load_b32 s0, s[0:1], 0x0
	v_mul_u64_e32 v[6:7], s[18:19], v[2:3]
	v_lshlrev_b32_e32 v4, 2, v2
	s_delay_alu instid0(VALU_DEP_1) | instskip(SKIP_1) | instid1(VALU_DEP_2)
	v_and_b32_e32 v8, 4, v4
	v_add_nc_u64_e32 v[2:3], s[16:17], v[4:5]
	v_add_nc_u64_e32 v[16:17], s[8:9], v[8:9]
	s_mov_b32 s9, s13
	s_wait_kmcnt 0x0
	s_cmp_eq_u32 s0, 0
	s_delay_alu instid0(VALU_DEP_1) | instskip(SKIP_1) | instid1(SALU_CYCLE_1)
	v_add_nc_u64_e32 v[18:19], v[16:17], v[8:9]
	s_cselect_b32 vcc_lo, -1, 0
	s_and_b32 s1, vcc_lo, exec_lo
	s_cselect_b32 s8, 4, 8
	s_lshl_b64 s[20:21], s[4:5], 2
	s_delay_alu instid0(VALU_DEP_1)
	v_dual_cndmask_b32 v5, v17, v19 :: v_dual_cndmask_b32 v4, v16, v18
	v_lshl_add_u64 v[6:7], v[6:7], 2, s[16:17]
	s_mov_b64 s[16:17], 0
	s_wait_loadcnt 0x0
	v_sub_nc_u64_e64 v[8:9], v[12:13], s[12:13]
	v_sub_nc_u64_e64 v[10:11], v[14:15], s[12:13]
	v_cmp_lt_i64_e64 s0, v[12:13], v[14:15]
	s_branch .LBB32_9
.LBB32_8:                               ;   in Loop: Header=BB32_9 Depth=1
	s_wait_xcnt 0x0
	s_or_b32 exec_lo, exec_lo, s1
	s_add_nc_u64 s[16:17], s[16:17], 64
	s_delay_alu instid0(SALU_CYCLE_1)
	v_cmp_lt_i64_e64 s1, s[16:17], s[14:15]
	s_and_b32 vcc_lo, exec_lo, s1
	s_cbranch_vccz .LBB32_30
.LBB32_9:                               ; =>This Loop Header: Depth=1
                                        ;     Child Loop BB32_12 Depth 2
                                        ;       Child Loop BB32_16 Depth 3
	v_dual_mov_b32 v13, s17 :: v_dual_bitop2_b32 v12, s16, v0 bitop3:0x54
	v_mov_b32_e32 v24, 0
	s_delay_alu instid0(VALU_DEP_3)
	s_and_saveexec_b32 s23, s0
	s_cbranch_execz .LBB32_18
; %bb.10:                               ;   in Loop: Header=BB32_9 Depth=1
	v_mov_b64_e32 v[16:17], v[8:9]
	v_lshl_add_u64 v[14:15], v[12:13], 2, s[10:11]
	v_mov_b32_e32 v24, 0
	s_mov_b32 s25, 0
	v_cmp_gt_i64_e32 vcc_lo, s[14:15], v[12:13]
	s_branch .LBB32_12
.LBB32_11:                              ;   in Loop: Header=BB32_12 Depth=2
	s_or_b32 exec_lo, exec_lo, s1
	v_add_nc_u64_e32 v[16:17], 64, v[16:17]
	s_delay_alu instid0(VALU_DEP_1) | instskip(SKIP_1) | instid1(SALU_CYCLE_1)
	v_cmp_ge_i64_e64 s1, v[16:17], v[10:11]
	s_or_b32 s25, s1, s25
	s_and_not1_b32 exec_lo, exec_lo, s25
	s_cbranch_execz .LBB32_17
.LBB32_12:                              ;   Parent Loop BB32_9 Depth=1
                                        ; =>  This Loop Header: Depth=2
                                        ;       Child Loop BB32_16 Depth 3
	s_delay_alu instid0(VALU_DEP_4) | instskip(SKIP_3) | instid1(VALU_DEP_3)
	v_add_nc_u64_e32 v[20:21], v[16:17], v[0:1]
	v_mov_b64_e32 v[18:19], 0
	v_dual_mov_b32 v25, 0 :: v_dual_mov_b32 v26, 0
	s_mov_b32 s26, exec_lo
	v_cmpx_lt_i64_e64 v[20:21], v[10:11]
	s_cbranch_execz .LBB32_14
; %bb.13:                               ;   in Loop: Header=BB32_12 Depth=2
	v_lshl_add_u64 v[18:19], v[20:21], 3, s[6:7]
	v_lshl_add_u64 v[20:21], v[20:21], 4, v[4:5]
	global_load_b64 v[18:19], v[18:19], off
	v_add_nc_u64_e32 v[28:29], s[8:9], v[20:21]
	s_clause 0x1
	global_load_b32 v25, v[20:21], off
	global_load_b32 v26, v[28:29], off
	s_wait_loadcnt 0x2
	s_wait_xcnt 0x2
	v_sub_nc_u64_e64 v[18:19], v[18:19], s[12:13]
	s_delay_alu instid0(VALU_DEP_1)
	v_lshlrev_b64_e32 v[18:19], 1, v[18:19]
.LBB32_14:                              ;   in Loop: Header=BB32_12 Depth=2
	s_wait_xcnt 0x0
	s_or_b32 exec_lo, exec_lo, s26
	ds_store_b64 v22, v[18:19]
	s_wait_loadcnt 0x0
	ds_store_2addr_b32 v23, v25, v26 offset1:1
	s_wait_dscnt 0x0
	s_barrier_signal -1
	s_barrier_wait -1
	s_and_saveexec_b32 s1, vcc_lo
	s_cbranch_execz .LBB32_11
; %bb.15:                               ;   in Loop: Header=BB32_12 Depth=2
	v_mov_b32_e32 v18, 0
	s_mov_b32 s26, 0
.LBB32_16:                              ;   Parent Loop BB32_9 Depth=1
                                        ;     Parent Loop BB32_12 Depth=2
                                        ; =>    This Inner Loop Header: Depth=3
	s_delay_alu instid0(SALU_CYCLE_1) | instskip(SKIP_1) | instid1(SALU_CYCLE_1)
	v_add_nc_u32_e64 v19, 0x300, s26
	s_add_co_i32 s26, s26, 16
	s_cmp_lg_u32 s26, 0x200
	ds_load_b128 v[26:29], v19
	s_wait_dscnt 0x0
	v_mul_u64_e32 v[20:21], s[4:5], v[26:27]
	v_mul_u64_e32 v[26:27], s[4:5], v[28:29]
	s_delay_alu instid0(VALU_DEP_2) | instskip(NEXT) | instid1(VALU_DEP_1)
	v_lshl_add_u64 v[20:21], v[20:21], 2, v[14:15]
	v_add_nc_u64_e32 v[28:29], s[20:21], v[20:21]
	s_clause 0x1
	global_load_b32 v19, v[20:21], off
	global_load_b32 v25, v[28:29], off
	s_wait_xcnt 0x1
	v_lshl_add_u64 v[20:21], v[26:27], 2, v[14:15]
	s_delay_alu instid0(VALU_DEP_1)
	v_add_nc_u64_e32 v[26:27], s[20:21], v[20:21]
	s_clause 0x1
	global_load_b32 v28, v[20:21], off
	global_load_b32 v29, v[26:27], off
	s_wait_xcnt 0x1
	ds_load_b64 v[20:21], v18
	s_wait_xcnt 0x0
	ds_load_2addr_b32 v[26:27], v18 offset0:3 offset1:4
	s_wait_loadcnt_dscnt 0x301
	v_dual_add_nc_u32 v18, 24, v18 :: v_dual_fmac_f32 v24, v20, v19
	s_wait_loadcnt 0x2
	s_delay_alu instid0(VALU_DEP_1) | instskip(SKIP_1) | instid1(VALU_DEP_1)
	v_fmac_f32_e32 v24, v21, v25
	s_wait_loadcnt_dscnt 0x100
	v_fmac_f32_e32 v24, v26, v28
	s_wait_loadcnt 0x0
	s_delay_alu instid0(VALU_DEP_1)
	v_fmac_f32_e32 v24, v27, v29
	s_cbranch_scc1 .LBB32_16
	s_branch .LBB32_11
.LBB32_17:                              ;   in Loop: Header=BB32_9 Depth=1
	s_or_b32 exec_lo, exec_lo, s25
.LBB32_18:                              ;   in Loop: Header=BB32_9 Depth=1
	s_delay_alu instid0(SALU_CYCLE_1) | instskip(NEXT) | instid1(SALU_CYCLE_1)
	s_or_b32 exec_lo, exec_lo, s23
	s_mov_b32 s1, exec_lo
	v_cmpx_gt_i64_e64 s[14:15], v[12:13]
	s_cbranch_execz .LBB32_8
; %bb.19:                               ;   in Loop: Header=BB32_9 Depth=1
	s_and_b32 vcc_lo, exec_lo, s3
	s_cbranch_vccz .LBB32_25
; %bb.20:                               ;   in Loop: Header=BB32_9 Depth=1
	s_and_b32 vcc_lo, exec_lo, s22
	s_mov_b32 s23, -1
	s_cbranch_vccz .LBB32_22
; %bb.21:                               ;   in Loop: Header=BB32_9 Depth=1
	v_lshl_add_u64 v[14:15], v[12:13], 2, v[6:7]
	v_mul_f32_e32 v17, s2, v24
	s_mov_b32 s23, 0
	global_load_b32 v16, v[14:15], off
	s_wait_loadcnt 0x0
	v_fmac_f32_e32 v17, s24, v16
	global_store_b32 v[14:15], v17, off
.LBB32_22:                              ;   in Loop: Header=BB32_9 Depth=1
	s_and_not1_b32 vcc_lo, exec_lo, s23
	s_cbranch_vccnz .LBB32_24
; %bb.23:                               ;   in Loop: Header=BB32_9 Depth=1
	s_wait_xcnt 0x0
	v_mul_u64_e32 v[14:15], s[18:19], v[12:13]
	v_mul_f32_e32 v17, s2, v24
	s_delay_alu instid0(VALU_DEP_2)
	v_lshl_add_u64 v[14:15], v[14:15], 2, v[2:3]
	global_load_b32 v16, v[14:15], off
	s_wait_loadcnt 0x0
	v_fmac_f32_e32 v17, s24, v16
	global_store_b32 v[14:15], v17, off
.LBB32_24:                              ;   in Loop: Header=BB32_9 Depth=1
	s_cbranch_execnz .LBB32_8
	s_branch .LBB32_26
.LBB32_25:                              ;   in Loop: Header=BB32_9 Depth=1
.LBB32_26:                              ;   in Loop: Header=BB32_9 Depth=1
	s_wait_xcnt 0x0
	v_mul_f32_e32 v14, s2, v24
	s_and_b32 vcc_lo, exec_lo, s22
	s_mov_b32 s23, -1
	s_cbranch_vccz .LBB32_28
; %bb.27:                               ;   in Loop: Header=BB32_9 Depth=1
	v_lshl_add_u64 v[16:17], v[12:13], 2, v[6:7]
	s_mov_b32 s23, 0
	global_store_b32 v[16:17], v14, off
.LBB32_28:                              ;   in Loop: Header=BB32_9 Depth=1
	s_and_not1_b32 vcc_lo, exec_lo, s23
	s_cbranch_vccnz .LBB32_8
; %bb.29:                               ;   in Loop: Header=BB32_9 Depth=1
	v_mul_u64_e32 v[12:13], s[18:19], v[12:13]
	s_delay_alu instid0(VALU_DEP_1)
	v_lshl_add_u64 v[12:13], v[12:13], 2, v[2:3]
	global_store_b32 v[12:13], v14, off
	s_branch .LBB32_8
.LBB32_30:
	s_endpgm
	.section	.rodata,"a",@progbits
	.p2align	6, 0x0
	.amdhsa_kernel _ZN9rocsparseL29bsrmmnt_small_blockdim_kernelILj64ELj64ELj2EllffffEEv20rocsparse_direction_T3_S2_llNS_24const_host_device_scalarIT7_EEPKT2_PKS2_PKT4_PKT5_llS5_PT6_ll16rocsparse_order_21rocsparse_index_base_b
		.amdhsa_group_segment_fixed_size 1280
		.amdhsa_private_segment_fixed_size 0
		.amdhsa_kernarg_size 400
		.amdhsa_user_sgpr_count 2
		.amdhsa_user_sgpr_dispatch_ptr 0
		.amdhsa_user_sgpr_queue_ptr 0
		.amdhsa_user_sgpr_kernarg_segment_ptr 1
		.amdhsa_user_sgpr_dispatch_id 0
		.amdhsa_user_sgpr_kernarg_preload_length 0
		.amdhsa_user_sgpr_kernarg_preload_offset 0
		.amdhsa_user_sgpr_private_segment_size 0
		.amdhsa_wavefront_size32 1
		.amdhsa_uses_dynamic_stack 0
		.amdhsa_enable_private_segment 0
		.amdhsa_system_sgpr_workgroup_id_x 1
		.amdhsa_system_sgpr_workgroup_id_y 0
		.amdhsa_system_sgpr_workgroup_id_z 0
		.amdhsa_system_sgpr_workgroup_info 0
		.amdhsa_system_vgpr_workitem_id 0
		.amdhsa_next_free_vgpr 30
		.amdhsa_next_free_sgpr 27
		.amdhsa_named_barrier_count 0
		.amdhsa_reserve_vcc 1
		.amdhsa_float_round_mode_32 0
		.amdhsa_float_round_mode_16_64 0
		.amdhsa_float_denorm_mode_32 3
		.amdhsa_float_denorm_mode_16_64 3
		.amdhsa_fp16_overflow 0
		.amdhsa_memory_ordered 1
		.amdhsa_forward_progress 1
		.amdhsa_inst_pref_size 10
		.amdhsa_round_robin_scheduling 0
		.amdhsa_exception_fp_ieee_invalid_op 0
		.amdhsa_exception_fp_denorm_src 0
		.amdhsa_exception_fp_ieee_div_zero 0
		.amdhsa_exception_fp_ieee_overflow 0
		.amdhsa_exception_fp_ieee_underflow 0
		.amdhsa_exception_fp_ieee_inexact 0
		.amdhsa_exception_int_div_zero 0
	.end_amdhsa_kernel
	.section	.text._ZN9rocsparseL29bsrmmnt_small_blockdim_kernelILj64ELj64ELj2EllffffEEv20rocsparse_direction_T3_S2_llNS_24const_host_device_scalarIT7_EEPKT2_PKS2_PKT4_PKT5_llS5_PT6_ll16rocsparse_order_21rocsparse_index_base_b,"axG",@progbits,_ZN9rocsparseL29bsrmmnt_small_blockdim_kernelILj64ELj64ELj2EllffffEEv20rocsparse_direction_T3_S2_llNS_24const_host_device_scalarIT7_EEPKT2_PKS2_PKT4_PKT5_llS5_PT6_ll16rocsparse_order_21rocsparse_index_base_b,comdat
.Lfunc_end32:
	.size	_ZN9rocsparseL29bsrmmnt_small_blockdim_kernelILj64ELj64ELj2EllffffEEv20rocsparse_direction_T3_S2_llNS_24const_host_device_scalarIT7_EEPKT2_PKS2_PKT4_PKT5_llS5_PT6_ll16rocsparse_order_21rocsparse_index_base_b, .Lfunc_end32-_ZN9rocsparseL29bsrmmnt_small_blockdim_kernelILj64ELj64ELj2EllffffEEv20rocsparse_direction_T3_S2_llNS_24const_host_device_scalarIT7_EEPKT2_PKS2_PKT4_PKT5_llS5_PT6_ll16rocsparse_order_21rocsparse_index_base_b
                                        ; -- End function
	.set _ZN9rocsparseL29bsrmmnt_small_blockdim_kernelILj64ELj64ELj2EllffffEEv20rocsparse_direction_T3_S2_llNS_24const_host_device_scalarIT7_EEPKT2_PKS2_PKT4_PKT5_llS5_PT6_ll16rocsparse_order_21rocsparse_index_base_b.num_vgpr, 30
	.set _ZN9rocsparseL29bsrmmnt_small_blockdim_kernelILj64ELj64ELj2EllffffEEv20rocsparse_direction_T3_S2_llNS_24const_host_device_scalarIT7_EEPKT2_PKS2_PKT4_PKT5_llS5_PT6_ll16rocsparse_order_21rocsparse_index_base_b.num_agpr, 0
	.set _ZN9rocsparseL29bsrmmnt_small_blockdim_kernelILj64ELj64ELj2EllffffEEv20rocsparse_direction_T3_S2_llNS_24const_host_device_scalarIT7_EEPKT2_PKS2_PKT4_PKT5_llS5_PT6_ll16rocsparse_order_21rocsparse_index_base_b.numbered_sgpr, 27
	.set _ZN9rocsparseL29bsrmmnt_small_blockdim_kernelILj64ELj64ELj2EllffffEEv20rocsparse_direction_T3_S2_llNS_24const_host_device_scalarIT7_EEPKT2_PKS2_PKT4_PKT5_llS5_PT6_ll16rocsparse_order_21rocsparse_index_base_b.num_named_barrier, 0
	.set _ZN9rocsparseL29bsrmmnt_small_blockdim_kernelILj64ELj64ELj2EllffffEEv20rocsparse_direction_T3_S2_llNS_24const_host_device_scalarIT7_EEPKT2_PKS2_PKT4_PKT5_llS5_PT6_ll16rocsparse_order_21rocsparse_index_base_b.private_seg_size, 0
	.set _ZN9rocsparseL29bsrmmnt_small_blockdim_kernelILj64ELj64ELj2EllffffEEv20rocsparse_direction_T3_S2_llNS_24const_host_device_scalarIT7_EEPKT2_PKS2_PKT4_PKT5_llS5_PT6_ll16rocsparse_order_21rocsparse_index_base_b.uses_vcc, 1
	.set _ZN9rocsparseL29bsrmmnt_small_blockdim_kernelILj64ELj64ELj2EllffffEEv20rocsparse_direction_T3_S2_llNS_24const_host_device_scalarIT7_EEPKT2_PKS2_PKT4_PKT5_llS5_PT6_ll16rocsparse_order_21rocsparse_index_base_b.uses_flat_scratch, 0
	.set _ZN9rocsparseL29bsrmmnt_small_blockdim_kernelILj64ELj64ELj2EllffffEEv20rocsparse_direction_T3_S2_llNS_24const_host_device_scalarIT7_EEPKT2_PKS2_PKT4_PKT5_llS5_PT6_ll16rocsparse_order_21rocsparse_index_base_b.has_dyn_sized_stack, 0
	.set _ZN9rocsparseL29bsrmmnt_small_blockdim_kernelILj64ELj64ELj2EllffffEEv20rocsparse_direction_T3_S2_llNS_24const_host_device_scalarIT7_EEPKT2_PKS2_PKT4_PKT5_llS5_PT6_ll16rocsparse_order_21rocsparse_index_base_b.has_recursion, 0
	.set _ZN9rocsparseL29bsrmmnt_small_blockdim_kernelILj64ELj64ELj2EllffffEEv20rocsparse_direction_T3_S2_llNS_24const_host_device_scalarIT7_EEPKT2_PKS2_PKT4_PKT5_llS5_PT6_ll16rocsparse_order_21rocsparse_index_base_b.has_indirect_call, 0
	.section	.AMDGPU.csdata,"",@progbits
; Kernel info:
; codeLenInByte = 1252
; TotalNumSgprs: 29
; NumVgprs: 30
; ScratchSize: 0
; MemoryBound: 0
; FloatMode: 240
; IeeeMode: 1
; LDSByteSize: 1280 bytes/workgroup (compile time only)
; SGPRBlocks: 0
; VGPRBlocks: 1
; NumSGPRsForWavesPerEU: 29
; NumVGPRsForWavesPerEU: 30
; NamedBarCnt: 0
; Occupancy: 16
; WaveLimiterHint : 1
; COMPUTE_PGM_RSRC2:SCRATCH_EN: 0
; COMPUTE_PGM_RSRC2:USER_SGPR: 2
; COMPUTE_PGM_RSRC2:TRAP_HANDLER: 0
; COMPUTE_PGM_RSRC2:TGID_X_EN: 1
; COMPUTE_PGM_RSRC2:TGID_Y_EN: 0
; COMPUTE_PGM_RSRC2:TGID_Z_EN: 0
; COMPUTE_PGM_RSRC2:TIDIG_COMP_CNT: 0
	.section	.text._ZN9rocsparseL29bsrmmnt_small_blockdim_kernelILj64ELj8ELj2EiiddddEEv20rocsparse_direction_T3_S2_llNS_24const_host_device_scalarIT7_EEPKT2_PKS2_PKT4_PKT5_llS5_PT6_ll16rocsparse_order_21rocsparse_index_base_b,"axG",@progbits,_ZN9rocsparseL29bsrmmnt_small_blockdim_kernelILj64ELj8ELj2EiiddddEEv20rocsparse_direction_T3_S2_llNS_24const_host_device_scalarIT7_EEPKT2_PKS2_PKT4_PKT5_llS5_PT6_ll16rocsparse_order_21rocsparse_index_base_b,comdat
	.globl	_ZN9rocsparseL29bsrmmnt_small_blockdim_kernelILj64ELj8ELj2EiiddddEEv20rocsparse_direction_T3_S2_llNS_24const_host_device_scalarIT7_EEPKT2_PKS2_PKT4_PKT5_llS5_PT6_ll16rocsparse_order_21rocsparse_index_base_b ; -- Begin function _ZN9rocsparseL29bsrmmnt_small_blockdim_kernelILj64ELj8ELj2EiiddddEEv20rocsparse_direction_T3_S2_llNS_24const_host_device_scalarIT7_EEPKT2_PKS2_PKT4_PKT5_llS5_PT6_ll16rocsparse_order_21rocsparse_index_base_b
	.p2align	8
	.type	_ZN9rocsparseL29bsrmmnt_small_blockdim_kernelILj64ELj8ELj2EiiddddEEv20rocsparse_direction_T3_S2_llNS_24const_host_device_scalarIT7_EEPKT2_PKS2_PKT4_PKT5_llS5_PT6_ll16rocsparse_order_21rocsparse_index_base_b,@function
_ZN9rocsparseL29bsrmmnt_small_blockdim_kernelILj64ELj8ELj2EiiddddEEv20rocsparse_direction_T3_S2_llNS_24const_host_device_scalarIT7_EEPKT2_PKS2_PKT4_PKT5_llS5_PT6_ll16rocsparse_order_21rocsparse_index_base_b: ; @_ZN9rocsparseL29bsrmmnt_small_blockdim_kernelILj64ELj8ELj2EiiddddEEv20rocsparse_direction_T3_S2_llNS_24const_host_device_scalarIT7_EEPKT2_PKS2_PKT4_PKT5_llS5_PT6_ll16rocsparse_order_21rocsparse_index_base_b
; %bb.0:
	s_clause 0x2
	s_load_b96 s[16:18], s[0:1], 0x78
	s_load_b64 s[4:5], s[0:1], 0x20
	s_load_b64 s[2:3], s[0:1], 0x58
	s_wait_kmcnt 0x0
	s_bitcmp1_b32 s18, 0
	v_mov_b64_e32 v[2:3], s[4:5]
	s_cselect_b32 s6, -1, 0
	s_delay_alu instid0(SALU_CYCLE_1)
	s_and_b32 vcc_lo, exec_lo, s6
	s_xor_b32 s6, s6, -1
	s_cbranch_vccnz .LBB33_2
; %bb.1:
	v_mov_b32_e32 v1, 0
	flat_load_b64 v[2:3], v1, s[4:5]
.LBB33_2:
	v_mov_b64_e32 v[4:5], s[2:3]
	s_and_not1_b32 vcc_lo, exec_lo, s6
	s_cbranch_vccnz .LBB33_4
; %bb.3:
	s_wait_xcnt 0x0
	v_mov_b32_e32 v1, 0
	flat_load_b64 v[4:5], v1, s[2:3]
.LBB33_4:
	s_wait_loadcnt_dscnt 0x0
	v_cmp_neq_f64_e32 vcc_lo, 0, v[2:3]
	s_delay_alu instid0(VALU_DEP_2) | instskip(SKIP_1) | instid1(SALU_CYCLE_1)
	v_cmp_neq_f64_e64 s2, 1.0, v[4:5]
	s_or_b32 s2, vcc_lo, s2
	s_and_saveexec_b32 s3, s2
	s_cbranch_execz .LBB33_29
; %bb.5:
	s_clause 0x1
	s_load_b32 s2, s[0:1], 0x94
	s_load_b96 s[20:22], s[0:1], 0x0
	s_bfe_u32 s3, ttmp6, 0x4000c
	s_and_b32 s4, ttmp6, 15
	s_add_co_i32 s3, s3, 1
	s_getreg_b32 s5, hwreg(HW_REG_IB_STS2, 6, 4)
	s_mul_i32 s3, ttmp9, s3
	s_delay_alu instid0(SALU_CYCLE_1) | instskip(SKIP_4) | instid1(SALU_CYCLE_1)
	s_add_co_i32 s4, s4, s3
	s_wait_kmcnt 0x0
	s_and_b32 s2, s2, 0xffff
	s_cmp_eq_u32 s5, 0
	s_cselect_b32 s3, ttmp9, s4
	v_mad_u32 v1, s3, s2, v0
	s_delay_alu instid0(VALU_DEP_1) | instskip(NEXT) | instid1(VALU_DEP_1)
	v_lshrrev_b32_e32 v6, 4, v1
	v_cmp_gt_i32_e32 vcc_lo, s21, v6
	s_and_b32 exec_lo, exec_lo, vcc_lo
	s_cbranch_execz .LBB33_29
; %bb.6:
	s_cmp_lt_i32 s22, 1
	s_cbranch_scc1 .LBB33_29
; %bb.7:
	s_load_b256 s[4:11], s[0:1], 0x28
	v_dual_mov_b32 v7, 0 :: v_dual_lshlrev_b32 v6, 2, v6
	s_load_b128 s[12:15], s[0:1], 0x60
	v_bfe_u32 v12, v1, 3, 1
	s_cmp_eq_u32 s20, 0
	s_mov_b32 s3, 0
	s_cselect_b32 vcc_lo, -1, 0
	s_cmp_lg_u32 s16, 1
	v_and_b32_e32 v18, 7, v0
	v_or_b32_e32 v13, 2, v12
	s_delay_alu instid0(VALU_DEP_2)
	v_mul_u32_u24_e32 v14, 24, v18
	s_wait_kmcnt 0x0
	global_load_b64 v[8:9], v6, s[4:5]
	s_wait_xcnt 0x0
	v_lshrrev_b32_e32 v6, 3, v1
	s_load_b64 s[4:5], s[0:1], 0x48
	s_wait_xcnt 0x0
	v_cmp_neq_f64_e64 s0, 0, v[4:5]
	s_delay_alu instid0(VALU_DEP_2) | instskip(SKIP_2) | instid1(VALU_DEP_1)
	v_mul_u64_e32 v[10:11], s[14:15], v[6:7]
	v_lshrrev_b32_e32 v6, 3, v0
	v_lshlrev_b32_e32 v0, 1, v12
	v_or_b32_e32 v15, 1, v0
	s_delay_alu instid0(VALU_DEP_3) | instskip(SKIP_2) | instid1(VALU_DEP_4)
	v_lshl_or_b32 v19, v6, 5, 0x600
	v_mul_u32_u24_e32 v20, 0xc0, v6
	v_dual_cndmask_b32 v22, v12, v0, vcc_lo :: v_dual_bitop2_b32 v6, -8, v1 bitop3:0x40
	v_cndmask_b32_e32 v23, v13, v15, vcc_lo
	s_delay_alu instid0(VALU_DEP_4) | instskip(NEXT) | instid1(VALU_DEP_4)
	v_lshl_or_b32 v21, v18, 2, v19
	v_add_nc_u32_e32 v26, v20, v14
	s_delay_alu instid0(VALU_DEP_4)
	v_add_nc_u64_e32 v[0:1], s[12:13], v[6:7]
	v_lshl_add_u64 v[6:7], v[10:11], 3, s[12:13]
	s_cselect_b32 s12, -1, 0
	s_wait_loadcnt 0x0
	v_subrev_nc_u32_e32 v24, s17, v8
	v_subrev_nc_u32_e32 v25, s17, v9
	v_cmp_lt_i32_e64 s1, v8, v9
	s_branch .LBB33_9
.LBB33_8:                               ;   in Loop: Header=BB33_9 Depth=1
	s_wait_xcnt 0x0
	s_or_b32 exec_lo, exec_lo, s2
	s_add_co_i32 s3, s3, 8
	s_delay_alu instid0(SALU_CYCLE_1)
	s_cmp_lt_i32 s3, s22
	s_cbranch_scc0 .LBB33_29
.LBB33_9:                               ; =>This Loop Header: Depth=1
                                        ;     Child Loop BB33_12 Depth 2
                                        ;       Child Loop BB33_16 Depth 3
	v_or_b32_e32 v8, s3, v18
	v_mov_b64_e32 v[10:11], 0
	s_delay_alu instid0(VALU_DEP_2)
	v_ashrrev_i32_e32 v9, 31, v8
	s_and_saveexec_b32 s13, s1
	s_cbranch_execz .LBB33_18
; %bb.10:                               ;   in Loop: Header=BB33_9 Depth=1
	v_mov_b64_e32 v[10:11], 0
	s_delay_alu instid0(VALU_DEP_2)
	v_lshl_add_u64 v[12:13], v[8:9], 3, s[10:11]
	v_mov_b32_e32 v27, v24
	s_mov_b32 s16, 0
	v_cmp_gt_i32_e32 vcc_lo, s22, v8
	s_branch .LBB33_12
.LBB33_11:                              ;   in Loop: Header=BB33_12 Depth=2
	s_wait_xcnt 0x0
	s_or_b32 exec_lo, exec_lo, s2
	v_add_nc_u32_e32 v27, 8, v27
	s_delay_alu instid0(VALU_DEP_1) | instskip(SKIP_1) | instid1(SALU_CYCLE_1)
	v_cmp_ge_i32_e64 s2, v27, v25
	s_or_b32 s16, s2, s16
	s_and_not1_b32 exec_lo, exec_lo, s16
	s_cbranch_execz .LBB33_17
.LBB33_12:                              ;   Parent Loop BB33_9 Depth=1
                                        ; =>  This Loop Header: Depth=2
                                        ;       Child Loop BB33_16 Depth 3
	v_mov_b64_e32 v[14:15], 0
	v_mov_b64_e32 v[16:17], 0
	v_dual_mov_b32 v29, 0 :: v_dual_add_nc_u32 v28, v27, v18
	s_mov_b32 s18, exec_lo
	s_delay_alu instid0(VALU_DEP_1)
	v_cmpx_lt_i32_e64 v28, v25
	s_cbranch_execz .LBB33_14
; %bb.13:                               ;   in Loop: Header=BB33_12 Depth=2
	v_lshlrev_b32_e32 v14, 2, v28
	global_load_b32 v28, v28, s[6:7] scale_offset
	v_or_b32_e32 v29, v14, v22
	v_or_b32_e32 v30, v14, v23
	s_clause 0x1
	global_load_b64 v[14:15], v29, s[8:9] scale_offset
	global_load_b64 v[16:17], v30, s[8:9] scale_offset
	s_wait_loadcnt 0x2
	s_wait_xcnt 0x2
	v_subrev_nc_u32_e32 v28, s17, v28
	s_wait_xcnt 0x1
	s_delay_alu instid0(VALU_DEP_1)
	v_lshlrev_b32_e32 v29, 1, v28
.LBB33_14:                              ;   in Loop: Header=BB33_12 Depth=2
	s_wait_xcnt 0x0
	s_or_b32 exec_lo, exec_lo, s18
	ds_store_b32 v21, v29
	s_wait_loadcnt 0x0
	ds_store_2addr_b64 v26, v[14:15], v[16:17] offset1:1
	s_wait_dscnt 0x0
	s_barrier_signal -1
	s_barrier_wait -1
	s_and_saveexec_b32 s2, vcc_lo
	s_cbranch_execz .LBB33_11
; %bb.15:                               ;   in Loop: Header=BB33_12 Depth=2
	v_mov_b32_e32 v14, v20
	s_mov_b32 s18, 0
.LBB33_16:                              ;   Parent Loop BB33_9 Depth=1
                                        ;     Parent Loop BB33_12 Depth=2
                                        ; =>    This Inner Loop Header: Depth=3
	s_delay_alu instid0(SALU_CYCLE_1) | instskip(SKIP_1) | instid1(SALU_CYCLE_1)
	v_add_nc_u32_e32 v15, s18, v19
	s_add_co_i32 s18, s18, 8
	s_cmp_lg_u32 s18, 32
	s_wait_xcnt 0x0
	ds_load_b64 v[16:17], v15
	s_wait_dscnt 0x0
	v_dual_mov_b32 v28, v16 :: v_dual_ashrrev_i32 v29, 31, v16
	v_dual_add_nc_u32 v30, 1, v16 :: v_dual_add_nc_u32 v16, 1, v17
	s_wait_kmcnt 0x0
	s_delay_alu instid0(VALU_DEP_2) | instskip(NEXT) | instid1(VALU_DEP_2)
	v_mul_u64_e32 v[28:29], s[4:5], v[28:29]
	v_ashrrev_i32_e32 v31, 31, v30
	s_delay_alu instid0(VALU_DEP_1) | instskip(NEXT) | instid1(VALU_DEP_3)
	v_mul_u64_e32 v[30:31], s[4:5], v[30:31]
	v_lshl_add_u64 v[28:29], v[28:29], 3, v[12:13]
	global_load_b64 v[36:37], v[28:29], off
	v_lshl_add_u64 v[30:31], v[30:31], 3, v[12:13]
	global_load_b64 v[38:39], v[30:31], off
	s_wait_xcnt 0x1
	v_dual_mov_b32 v28, v17 :: v_dual_ashrrev_i32 v29, 31, v17
	v_ashrrev_i32_e32 v17, 31, v16
	s_delay_alu instid0(VALU_DEP_2) | instskip(NEXT) | instid1(VALU_DEP_2)
	v_mul_u64_e32 v[28:29], s[4:5], v[28:29]
	v_mul_u64_e32 v[16:17], s[4:5], v[16:17]
	s_delay_alu instid0(VALU_DEP_2) | instskip(NEXT) | instid1(VALU_DEP_2)
	v_lshl_add_u64 v[28:29], v[28:29], 3, v[12:13]
	v_lshl_add_u64 v[16:17], v[16:17], 3, v[12:13]
	s_clause 0x1
	global_load_b64 v[40:41], v[28:29], off
	global_load_b64 v[16:17], v[16:17], off
	s_wait_xcnt 0x1
	ds_load_b128 v[28:31], v14
	ds_load_2addr_b64 v[32:35], v14 offset0:3 offset1:4
	v_add_nc_u32_e32 v14, 48, v14
	s_wait_loadcnt_dscnt 0x301
	v_fmac_f64_e32 v[10:11], v[28:29], v[36:37]
	s_wait_loadcnt 0x2
	s_delay_alu instid0(VALU_DEP_1) | instskip(SKIP_1) | instid1(VALU_DEP_1)
	v_fmac_f64_e32 v[10:11], v[30:31], v[38:39]
	s_wait_loadcnt_dscnt 0x100
	v_fmac_f64_e32 v[10:11], v[32:33], v[40:41]
	s_wait_loadcnt 0x0
	s_delay_alu instid0(VALU_DEP_1)
	v_fmac_f64_e32 v[10:11], v[34:35], v[16:17]
	s_cbranch_scc1 .LBB33_16
	s_branch .LBB33_11
.LBB33_17:                              ;   in Loop: Header=BB33_9 Depth=1
	s_or_b32 exec_lo, exec_lo, s16
.LBB33_18:                              ;   in Loop: Header=BB33_9 Depth=1
	s_delay_alu instid0(SALU_CYCLE_1) | instskip(NEXT) | instid1(SALU_CYCLE_1)
	s_or_b32 exec_lo, exec_lo, s13
	s_mov_b32 s2, exec_lo
	v_cmpx_gt_i32_e64 s22, v8
	s_cbranch_execz .LBB33_8
; %bb.19:                               ;   in Loop: Header=BB33_9 Depth=1
	s_and_saveexec_b32 s13, s0
	s_delay_alu instid0(SALU_CYCLE_1)
	s_xor_b32 s13, exec_lo, s13
	s_cbranch_execz .LBB33_24
; %bb.20:                               ;   in Loop: Header=BB33_9 Depth=1
	s_and_b32 vcc_lo, exec_lo, s12
	s_mov_b32 s16, -1
	s_cbranch_vccz .LBB33_22
; %bb.21:                               ;   in Loop: Header=BB33_9 Depth=1
	v_lshl_add_u64 v[12:13], v[8:9], 3, v[6:7]
	v_mul_f64_e32 v[16:17], v[2:3], v[10:11]
	s_mov_b32 s16, 0
	global_load_b64 v[14:15], v[12:13], off
	s_wait_loadcnt 0x0
	v_fmac_f64_e32 v[16:17], v[4:5], v[14:15]
	global_store_b64 v[12:13], v[16:17], off
.LBB33_22:                              ;   in Loop: Header=BB33_9 Depth=1
	s_and_not1_b32 vcc_lo, exec_lo, s16
	s_cbranch_vccnz .LBB33_24
; %bb.23:                               ;   in Loop: Header=BB33_9 Depth=1
	v_mul_u64_e32 v[8:9], s[14:15], v[8:9]
	v_mul_f64_e32 v[10:11], v[2:3], v[10:11]
	s_delay_alu instid0(VALU_DEP_2)
	v_lshl_add_u64 v[8:9], v[8:9], 3, v[0:1]
	global_load_b64 v[12:13], v[8:9], off
	s_wait_loadcnt 0x0
	v_fmac_f64_e32 v[10:11], v[4:5], v[12:13]
	global_store_b64 v[8:9], v[10:11], off
                                        ; implicit-def: $vgpr10_vgpr11
                                        ; implicit-def: $vgpr8
.LBB33_24:                              ;   in Loop: Header=BB33_9 Depth=1
	s_wait_xcnt 0x0
	s_and_not1_saveexec_b32 s13, s13
	s_cbranch_execz .LBB33_8
; %bb.25:                               ;   in Loop: Header=BB33_9 Depth=1
	v_mul_f64_e32 v[10:11], v[2:3], v[10:11]
	s_and_b32 vcc_lo, exec_lo, s12
	s_mov_b32 s13, -1
	s_cbranch_vccz .LBB33_27
; %bb.26:                               ;   in Loop: Header=BB33_9 Depth=1
	v_lshl_add_u64 v[12:13], v[8:9], 3, v[6:7]
	s_mov_b32 s13, 0
	global_store_b64 v[12:13], v[10:11], off
.LBB33_27:                              ;   in Loop: Header=BB33_9 Depth=1
	s_and_not1_b32 vcc_lo, exec_lo, s13
	s_cbranch_vccnz .LBB33_8
; %bb.28:                               ;   in Loop: Header=BB33_9 Depth=1
	v_mul_u64_e32 v[8:9], s[14:15], v[8:9]
	s_delay_alu instid0(VALU_DEP_1)
	v_lshl_add_u64 v[8:9], v[8:9], 3, v[0:1]
	global_store_b64 v[8:9], v[10:11], off
	s_branch .LBB33_8
.LBB33_29:
	s_endpgm
	.section	.rodata,"a",@progbits
	.p2align	6, 0x0
	.amdhsa_kernel _ZN9rocsparseL29bsrmmnt_small_blockdim_kernelILj64ELj8ELj2EiiddddEEv20rocsparse_direction_T3_S2_llNS_24const_host_device_scalarIT7_EEPKT2_PKS2_PKT4_PKT5_llS5_PT6_ll16rocsparse_order_21rocsparse_index_base_b
		.amdhsa_group_segment_fixed_size 1792
		.amdhsa_private_segment_fixed_size 0
		.amdhsa_kernarg_size 392
		.amdhsa_user_sgpr_count 2
		.amdhsa_user_sgpr_dispatch_ptr 0
		.amdhsa_user_sgpr_queue_ptr 0
		.amdhsa_user_sgpr_kernarg_segment_ptr 1
		.amdhsa_user_sgpr_dispatch_id 0
		.amdhsa_user_sgpr_kernarg_preload_length 0
		.amdhsa_user_sgpr_kernarg_preload_offset 0
		.amdhsa_user_sgpr_private_segment_size 0
		.amdhsa_wavefront_size32 1
		.amdhsa_uses_dynamic_stack 0
		.amdhsa_enable_private_segment 0
		.amdhsa_system_sgpr_workgroup_id_x 1
		.amdhsa_system_sgpr_workgroup_id_y 0
		.amdhsa_system_sgpr_workgroup_id_z 0
		.amdhsa_system_sgpr_workgroup_info 0
		.amdhsa_system_vgpr_workitem_id 0
		.amdhsa_next_free_vgpr 42
		.amdhsa_next_free_sgpr 23
		.amdhsa_named_barrier_count 0
		.amdhsa_reserve_vcc 1
		.amdhsa_float_round_mode_32 0
		.amdhsa_float_round_mode_16_64 0
		.amdhsa_float_denorm_mode_32 3
		.amdhsa_float_denorm_mode_16_64 3
		.amdhsa_fp16_overflow 0
		.amdhsa_memory_ordered 1
		.amdhsa_forward_progress 1
		.amdhsa_inst_pref_size 11
		.amdhsa_round_robin_scheduling 0
		.amdhsa_exception_fp_ieee_invalid_op 0
		.amdhsa_exception_fp_denorm_src 0
		.amdhsa_exception_fp_ieee_div_zero 0
		.amdhsa_exception_fp_ieee_overflow 0
		.amdhsa_exception_fp_ieee_underflow 0
		.amdhsa_exception_fp_ieee_inexact 0
		.amdhsa_exception_int_div_zero 0
	.end_amdhsa_kernel
	.section	.text._ZN9rocsparseL29bsrmmnt_small_blockdim_kernelILj64ELj8ELj2EiiddddEEv20rocsparse_direction_T3_S2_llNS_24const_host_device_scalarIT7_EEPKT2_PKS2_PKT4_PKT5_llS5_PT6_ll16rocsparse_order_21rocsparse_index_base_b,"axG",@progbits,_ZN9rocsparseL29bsrmmnt_small_blockdim_kernelILj64ELj8ELj2EiiddddEEv20rocsparse_direction_T3_S2_llNS_24const_host_device_scalarIT7_EEPKT2_PKS2_PKT4_PKT5_llS5_PT6_ll16rocsparse_order_21rocsparse_index_base_b,comdat
.Lfunc_end33:
	.size	_ZN9rocsparseL29bsrmmnt_small_blockdim_kernelILj64ELj8ELj2EiiddddEEv20rocsparse_direction_T3_S2_llNS_24const_host_device_scalarIT7_EEPKT2_PKS2_PKT4_PKT5_llS5_PT6_ll16rocsparse_order_21rocsparse_index_base_b, .Lfunc_end33-_ZN9rocsparseL29bsrmmnt_small_blockdim_kernelILj64ELj8ELj2EiiddddEEv20rocsparse_direction_T3_S2_llNS_24const_host_device_scalarIT7_EEPKT2_PKS2_PKT4_PKT5_llS5_PT6_ll16rocsparse_order_21rocsparse_index_base_b
                                        ; -- End function
	.set _ZN9rocsparseL29bsrmmnt_small_blockdim_kernelILj64ELj8ELj2EiiddddEEv20rocsparse_direction_T3_S2_llNS_24const_host_device_scalarIT7_EEPKT2_PKS2_PKT4_PKT5_llS5_PT6_ll16rocsparse_order_21rocsparse_index_base_b.num_vgpr, 42
	.set _ZN9rocsparseL29bsrmmnt_small_blockdim_kernelILj64ELj8ELj2EiiddddEEv20rocsparse_direction_T3_S2_llNS_24const_host_device_scalarIT7_EEPKT2_PKS2_PKT4_PKT5_llS5_PT6_ll16rocsparse_order_21rocsparse_index_base_b.num_agpr, 0
	.set _ZN9rocsparseL29bsrmmnt_small_blockdim_kernelILj64ELj8ELj2EiiddddEEv20rocsparse_direction_T3_S2_llNS_24const_host_device_scalarIT7_EEPKT2_PKS2_PKT4_PKT5_llS5_PT6_ll16rocsparse_order_21rocsparse_index_base_b.numbered_sgpr, 23
	.set _ZN9rocsparseL29bsrmmnt_small_blockdim_kernelILj64ELj8ELj2EiiddddEEv20rocsparse_direction_T3_S2_llNS_24const_host_device_scalarIT7_EEPKT2_PKS2_PKT4_PKT5_llS5_PT6_ll16rocsparse_order_21rocsparse_index_base_b.num_named_barrier, 0
	.set _ZN9rocsparseL29bsrmmnt_small_blockdim_kernelILj64ELj8ELj2EiiddddEEv20rocsparse_direction_T3_S2_llNS_24const_host_device_scalarIT7_EEPKT2_PKS2_PKT4_PKT5_llS5_PT6_ll16rocsparse_order_21rocsparse_index_base_b.private_seg_size, 0
	.set _ZN9rocsparseL29bsrmmnt_small_blockdim_kernelILj64ELj8ELj2EiiddddEEv20rocsparse_direction_T3_S2_llNS_24const_host_device_scalarIT7_EEPKT2_PKS2_PKT4_PKT5_llS5_PT6_ll16rocsparse_order_21rocsparse_index_base_b.uses_vcc, 1
	.set _ZN9rocsparseL29bsrmmnt_small_blockdim_kernelILj64ELj8ELj2EiiddddEEv20rocsparse_direction_T3_S2_llNS_24const_host_device_scalarIT7_EEPKT2_PKS2_PKT4_PKT5_llS5_PT6_ll16rocsparse_order_21rocsparse_index_base_b.uses_flat_scratch, 0
	.set _ZN9rocsparseL29bsrmmnt_small_blockdim_kernelILj64ELj8ELj2EiiddddEEv20rocsparse_direction_T3_S2_llNS_24const_host_device_scalarIT7_EEPKT2_PKS2_PKT4_PKT5_llS5_PT6_ll16rocsparse_order_21rocsparse_index_base_b.has_dyn_sized_stack, 0
	.set _ZN9rocsparseL29bsrmmnt_small_blockdim_kernelILj64ELj8ELj2EiiddddEEv20rocsparse_direction_T3_S2_llNS_24const_host_device_scalarIT7_EEPKT2_PKS2_PKT4_PKT5_llS5_PT6_ll16rocsparse_order_21rocsparse_index_base_b.has_recursion, 0
	.set _ZN9rocsparseL29bsrmmnt_small_blockdim_kernelILj64ELj8ELj2EiiddddEEv20rocsparse_direction_T3_S2_llNS_24const_host_device_scalarIT7_EEPKT2_PKS2_PKT4_PKT5_llS5_PT6_ll16rocsparse_order_21rocsparse_index_base_b.has_indirect_call, 0
	.section	.AMDGPU.csdata,"",@progbits
; Kernel info:
; codeLenInByte = 1284
; TotalNumSgprs: 25
; NumVgprs: 42
; ScratchSize: 0
; MemoryBound: 0
; FloatMode: 240
; IeeeMode: 1
; LDSByteSize: 1792 bytes/workgroup (compile time only)
; SGPRBlocks: 0
; VGPRBlocks: 2
; NumSGPRsForWavesPerEU: 25
; NumVGPRsForWavesPerEU: 42
; NamedBarCnt: 0
; Occupancy: 16
; WaveLimiterHint : 1
; COMPUTE_PGM_RSRC2:SCRATCH_EN: 0
; COMPUTE_PGM_RSRC2:USER_SGPR: 2
; COMPUTE_PGM_RSRC2:TRAP_HANDLER: 0
; COMPUTE_PGM_RSRC2:TGID_X_EN: 1
; COMPUTE_PGM_RSRC2:TGID_Y_EN: 0
; COMPUTE_PGM_RSRC2:TGID_Z_EN: 0
; COMPUTE_PGM_RSRC2:TIDIG_COMP_CNT: 0
	.section	.text._ZN9rocsparseL29bsrmmnt_small_blockdim_kernelILj64ELj16ELj2EiiddddEEv20rocsparse_direction_T3_S2_llNS_24const_host_device_scalarIT7_EEPKT2_PKS2_PKT4_PKT5_llS5_PT6_ll16rocsparse_order_21rocsparse_index_base_b,"axG",@progbits,_ZN9rocsparseL29bsrmmnt_small_blockdim_kernelILj64ELj16ELj2EiiddddEEv20rocsparse_direction_T3_S2_llNS_24const_host_device_scalarIT7_EEPKT2_PKS2_PKT4_PKT5_llS5_PT6_ll16rocsparse_order_21rocsparse_index_base_b,comdat
	.globl	_ZN9rocsparseL29bsrmmnt_small_blockdim_kernelILj64ELj16ELj2EiiddddEEv20rocsparse_direction_T3_S2_llNS_24const_host_device_scalarIT7_EEPKT2_PKS2_PKT4_PKT5_llS5_PT6_ll16rocsparse_order_21rocsparse_index_base_b ; -- Begin function _ZN9rocsparseL29bsrmmnt_small_blockdim_kernelILj64ELj16ELj2EiiddddEEv20rocsparse_direction_T3_S2_llNS_24const_host_device_scalarIT7_EEPKT2_PKS2_PKT4_PKT5_llS5_PT6_ll16rocsparse_order_21rocsparse_index_base_b
	.p2align	8
	.type	_ZN9rocsparseL29bsrmmnt_small_blockdim_kernelILj64ELj16ELj2EiiddddEEv20rocsparse_direction_T3_S2_llNS_24const_host_device_scalarIT7_EEPKT2_PKS2_PKT4_PKT5_llS5_PT6_ll16rocsparse_order_21rocsparse_index_base_b,@function
_ZN9rocsparseL29bsrmmnt_small_blockdim_kernelILj64ELj16ELj2EiiddddEEv20rocsparse_direction_T3_S2_llNS_24const_host_device_scalarIT7_EEPKT2_PKS2_PKT4_PKT5_llS5_PT6_ll16rocsparse_order_21rocsparse_index_base_b: ; @_ZN9rocsparseL29bsrmmnt_small_blockdim_kernelILj64ELj16ELj2EiiddddEEv20rocsparse_direction_T3_S2_llNS_24const_host_device_scalarIT7_EEPKT2_PKS2_PKT4_PKT5_llS5_PT6_ll16rocsparse_order_21rocsparse_index_base_b
; %bb.0:
	s_clause 0x2
	s_load_b96 s[16:18], s[0:1], 0x78
	s_load_b64 s[4:5], s[0:1], 0x20
	s_load_b64 s[2:3], s[0:1], 0x58
	s_wait_kmcnt 0x0
	s_bitcmp1_b32 s18, 0
	v_mov_b64_e32 v[2:3], s[4:5]
	s_cselect_b32 s6, -1, 0
	s_delay_alu instid0(SALU_CYCLE_1)
	s_and_b32 vcc_lo, exec_lo, s6
	s_xor_b32 s6, s6, -1
	s_cbranch_vccnz .LBB34_2
; %bb.1:
	v_mov_b32_e32 v1, 0
	flat_load_b64 v[2:3], v1, s[4:5]
.LBB34_2:
	v_mov_b64_e32 v[4:5], s[2:3]
	s_and_not1_b32 vcc_lo, exec_lo, s6
	s_cbranch_vccnz .LBB34_4
; %bb.3:
	s_wait_xcnt 0x0
	v_mov_b32_e32 v1, 0
	flat_load_b64 v[4:5], v1, s[2:3]
.LBB34_4:
	s_wait_loadcnt_dscnt 0x0
	v_cmp_neq_f64_e32 vcc_lo, 0, v[2:3]
	s_delay_alu instid0(VALU_DEP_2) | instskip(SKIP_1) | instid1(SALU_CYCLE_1)
	v_cmp_neq_f64_e64 s2, 1.0, v[4:5]
	s_or_b32 s2, vcc_lo, s2
	s_and_saveexec_b32 s3, s2
	s_cbranch_execz .LBB34_29
; %bb.5:
	s_clause 0x1
	s_load_b32 s2, s[0:1], 0x94
	s_load_b96 s[20:22], s[0:1], 0x0
	s_bfe_u32 s3, ttmp6, 0x4000c
	s_and_b32 s4, ttmp6, 15
	s_add_co_i32 s3, s3, 1
	s_getreg_b32 s5, hwreg(HW_REG_IB_STS2, 6, 4)
	s_mul_i32 s3, ttmp9, s3
	s_delay_alu instid0(SALU_CYCLE_1) | instskip(SKIP_4) | instid1(SALU_CYCLE_1)
	s_add_co_i32 s4, s4, s3
	s_wait_kmcnt 0x0
	s_and_b32 s2, s2, 0xffff
	s_cmp_eq_u32 s5, 0
	s_cselect_b32 s3, ttmp9, s4
	v_mad_u32 v1, s3, s2, v0
	s_delay_alu instid0(VALU_DEP_1) | instskip(NEXT) | instid1(VALU_DEP_1)
	v_lshrrev_b32_e32 v6, 5, v1
	v_cmp_gt_i32_e32 vcc_lo, s21, v6
	s_and_b32 exec_lo, exec_lo, vcc_lo
	s_cbranch_execz .LBB34_29
; %bb.6:
	s_cmp_lt_i32 s22, 1
	s_cbranch_scc1 .LBB34_29
; %bb.7:
	s_load_b256 s[4:11], s[0:1], 0x28
	v_dual_mov_b32 v7, 0 :: v_dual_lshlrev_b32 v6, 2, v6
	s_load_b128 s[12:15], s[0:1], 0x60
	s_cmp_eq_u32 s20, 0
	s_mov_b32 s3, 0
	s_cselect_b32 vcc_lo, -1, 0
	s_cmp_lg_u32 s16, 1
	v_lshrrev_b32_e32 v12, 4, v0
	s_delay_alu instid0(VALU_DEP_1)
	v_lshl_or_b32 v19, v12, 6, 0x600
	v_mul_u32_u24_e32 v20, 0x180, v12
	s_wait_kmcnt 0x0
	global_load_b64 v[8:9], v6, s[4:5]
	s_wait_xcnt 0x0
	v_lshrrev_b32_e32 v6, 4, v1
	s_load_b64 s[4:5], s[0:1], 0x48
	s_wait_xcnt 0x0
	v_cmp_neq_f64_e64 s0, 0, v[4:5]
	v_bfe_u32 v1, v1, 4, 1
	v_and_b32_e32 v18, 15, v0
	v_mul_u64_e32 v[10:11], s[14:15], v[6:7]
	s_delay_alu instid0(VALU_DEP_3) | instskip(SKIP_1) | instid1(VALU_DEP_4)
	v_dual_lshlrev_b32 v6, 3, v6 :: v_dual_bitop2_b32 v13, 2, v1 bitop3:0x54
	v_lshlrev_b32_e32 v0, 1, v1
	v_mul_u32_u24_e32 v12, 24, v18
	v_lshl_or_b32 v21, v18, 2, v19
	s_delay_alu instid0(VALU_DEP_3) | instskip(SKIP_1) | instid1(VALU_DEP_2)
	v_dual_cndmask_b32 v22, v1, v0, vcc_lo :: v_dual_bitop2_b32 v14, 1, v0 bitop3:0x54
	v_add_nc_u64_e32 v[0:1], s[12:13], v[6:7]
	v_dual_cndmask_b32 v23, v13, v14 :: v_dual_add_nc_u32 v26, v20, v12
	v_lshl_add_u64 v[6:7], v[10:11], 3, s[12:13]
	s_cselect_b32 s12, -1, 0
	s_wait_loadcnt 0x0
	v_subrev_nc_u32_e32 v24, s17, v8
	v_subrev_nc_u32_e32 v25, s17, v9
	v_cmp_lt_i32_e64 s1, v8, v9
	s_branch .LBB34_9
.LBB34_8:                               ;   in Loop: Header=BB34_9 Depth=1
	s_wait_xcnt 0x0
	s_or_b32 exec_lo, exec_lo, s2
	s_add_co_i32 s3, s3, 16
	s_delay_alu instid0(SALU_CYCLE_1)
	s_cmp_lt_i32 s3, s22
	s_cbranch_scc0 .LBB34_29
.LBB34_9:                               ; =>This Loop Header: Depth=1
                                        ;     Child Loop BB34_12 Depth 2
                                        ;       Child Loop BB34_16 Depth 3
	v_or_b32_e32 v8, s3, v18
	v_mov_b64_e32 v[10:11], 0
	s_delay_alu instid0(VALU_DEP_2)
	v_ashrrev_i32_e32 v9, 31, v8
	s_and_saveexec_b32 s13, s1
	s_cbranch_execz .LBB34_18
; %bb.10:                               ;   in Loop: Header=BB34_9 Depth=1
	v_mov_b64_e32 v[10:11], 0
	s_delay_alu instid0(VALU_DEP_2)
	v_lshl_add_u64 v[12:13], v[8:9], 3, s[10:11]
	v_mov_b32_e32 v27, v24
	s_mov_b32 s16, 0
	v_cmp_gt_i32_e32 vcc_lo, s22, v8
	s_branch .LBB34_12
.LBB34_11:                              ;   in Loop: Header=BB34_12 Depth=2
	s_wait_xcnt 0x0
	s_or_b32 exec_lo, exec_lo, s2
	v_add_nc_u32_e32 v27, 16, v27
	s_delay_alu instid0(VALU_DEP_1) | instskip(SKIP_1) | instid1(SALU_CYCLE_1)
	v_cmp_ge_i32_e64 s2, v27, v25
	s_or_b32 s16, s2, s16
	s_and_not1_b32 exec_lo, exec_lo, s16
	s_cbranch_execz .LBB34_17
.LBB34_12:                              ;   Parent Loop BB34_9 Depth=1
                                        ; =>  This Loop Header: Depth=2
                                        ;       Child Loop BB34_16 Depth 3
	v_mov_b64_e32 v[14:15], 0
	v_mov_b64_e32 v[16:17], 0
	v_dual_mov_b32 v29, 0 :: v_dual_add_nc_u32 v28, v27, v18
	s_mov_b32 s18, exec_lo
	s_delay_alu instid0(VALU_DEP_1)
	v_cmpx_lt_i32_e64 v28, v25
	s_cbranch_execz .LBB34_14
; %bb.13:                               ;   in Loop: Header=BB34_12 Depth=2
	v_lshlrev_b32_e32 v14, 2, v28
	global_load_b32 v28, v28, s[6:7] scale_offset
	v_or_b32_e32 v29, v14, v22
	v_or_b32_e32 v30, v14, v23
	s_clause 0x1
	global_load_b64 v[14:15], v29, s[8:9] scale_offset
	global_load_b64 v[16:17], v30, s[8:9] scale_offset
	s_wait_loadcnt 0x2
	s_wait_xcnt 0x2
	v_subrev_nc_u32_e32 v28, s17, v28
	s_wait_xcnt 0x1
	s_delay_alu instid0(VALU_DEP_1)
	v_lshlrev_b32_e32 v29, 1, v28
.LBB34_14:                              ;   in Loop: Header=BB34_12 Depth=2
	s_wait_xcnt 0x0
	s_or_b32 exec_lo, exec_lo, s18
	ds_store_b32 v21, v29
	s_wait_loadcnt 0x0
	ds_store_2addr_b64 v26, v[14:15], v[16:17] offset1:1
	s_wait_dscnt 0x0
	s_barrier_signal -1
	s_barrier_wait -1
	s_and_saveexec_b32 s2, vcc_lo
	s_cbranch_execz .LBB34_11
; %bb.15:                               ;   in Loop: Header=BB34_12 Depth=2
	v_mov_b32_e32 v14, v20
	s_mov_b32 s18, 0
.LBB34_16:                              ;   Parent Loop BB34_9 Depth=1
                                        ;     Parent Loop BB34_12 Depth=2
                                        ; =>    This Inner Loop Header: Depth=3
	s_delay_alu instid0(SALU_CYCLE_1) | instskip(SKIP_1) | instid1(SALU_CYCLE_1)
	v_add_nc_u32_e32 v15, s18, v19
	s_add_co_i32 s18, s18, 8
	s_cmp_lg_u32 s18, 64
	s_wait_xcnt 0x0
	ds_load_b64 v[16:17], v15
	s_wait_dscnt 0x0
	v_dual_mov_b32 v28, v16 :: v_dual_ashrrev_i32 v29, 31, v16
	v_dual_add_nc_u32 v30, 1, v16 :: v_dual_add_nc_u32 v16, 1, v17
	s_wait_kmcnt 0x0
	s_delay_alu instid0(VALU_DEP_2) | instskip(NEXT) | instid1(VALU_DEP_2)
	v_mul_u64_e32 v[28:29], s[4:5], v[28:29]
	v_ashrrev_i32_e32 v31, 31, v30
	s_delay_alu instid0(VALU_DEP_1) | instskip(NEXT) | instid1(VALU_DEP_3)
	v_mul_u64_e32 v[30:31], s[4:5], v[30:31]
	v_lshl_add_u64 v[28:29], v[28:29], 3, v[12:13]
	global_load_b64 v[36:37], v[28:29], off
	v_lshl_add_u64 v[30:31], v[30:31], 3, v[12:13]
	global_load_b64 v[38:39], v[30:31], off
	s_wait_xcnt 0x1
	v_dual_mov_b32 v28, v17 :: v_dual_ashrrev_i32 v29, 31, v17
	v_ashrrev_i32_e32 v17, 31, v16
	s_delay_alu instid0(VALU_DEP_2) | instskip(NEXT) | instid1(VALU_DEP_2)
	v_mul_u64_e32 v[28:29], s[4:5], v[28:29]
	v_mul_u64_e32 v[16:17], s[4:5], v[16:17]
	s_delay_alu instid0(VALU_DEP_2) | instskip(NEXT) | instid1(VALU_DEP_2)
	v_lshl_add_u64 v[28:29], v[28:29], 3, v[12:13]
	v_lshl_add_u64 v[16:17], v[16:17], 3, v[12:13]
	s_clause 0x1
	global_load_b64 v[40:41], v[28:29], off
	global_load_b64 v[16:17], v[16:17], off
	s_wait_xcnt 0x1
	ds_load_b128 v[28:31], v14
	ds_load_2addr_b64 v[32:35], v14 offset0:3 offset1:4
	v_add_nc_u32_e32 v14, 48, v14
	s_wait_loadcnt_dscnt 0x301
	v_fmac_f64_e32 v[10:11], v[28:29], v[36:37]
	s_wait_loadcnt 0x2
	s_delay_alu instid0(VALU_DEP_1) | instskip(SKIP_1) | instid1(VALU_DEP_1)
	v_fmac_f64_e32 v[10:11], v[30:31], v[38:39]
	s_wait_loadcnt_dscnt 0x100
	v_fmac_f64_e32 v[10:11], v[32:33], v[40:41]
	s_wait_loadcnt 0x0
	s_delay_alu instid0(VALU_DEP_1)
	v_fmac_f64_e32 v[10:11], v[34:35], v[16:17]
	s_cbranch_scc1 .LBB34_16
	s_branch .LBB34_11
.LBB34_17:                              ;   in Loop: Header=BB34_9 Depth=1
	s_or_b32 exec_lo, exec_lo, s16
.LBB34_18:                              ;   in Loop: Header=BB34_9 Depth=1
	s_delay_alu instid0(SALU_CYCLE_1) | instskip(NEXT) | instid1(SALU_CYCLE_1)
	s_or_b32 exec_lo, exec_lo, s13
	s_mov_b32 s2, exec_lo
	v_cmpx_gt_i32_e64 s22, v8
	s_cbranch_execz .LBB34_8
; %bb.19:                               ;   in Loop: Header=BB34_9 Depth=1
	s_and_saveexec_b32 s13, s0
	s_delay_alu instid0(SALU_CYCLE_1)
	s_xor_b32 s13, exec_lo, s13
	s_cbranch_execz .LBB34_24
; %bb.20:                               ;   in Loop: Header=BB34_9 Depth=1
	s_and_b32 vcc_lo, exec_lo, s12
	s_mov_b32 s16, -1
	s_cbranch_vccz .LBB34_22
; %bb.21:                               ;   in Loop: Header=BB34_9 Depth=1
	v_lshl_add_u64 v[12:13], v[8:9], 3, v[6:7]
	v_mul_f64_e32 v[16:17], v[2:3], v[10:11]
	s_mov_b32 s16, 0
	global_load_b64 v[14:15], v[12:13], off
	s_wait_loadcnt 0x0
	v_fmac_f64_e32 v[16:17], v[4:5], v[14:15]
	global_store_b64 v[12:13], v[16:17], off
.LBB34_22:                              ;   in Loop: Header=BB34_9 Depth=1
	s_and_not1_b32 vcc_lo, exec_lo, s16
	s_cbranch_vccnz .LBB34_24
; %bb.23:                               ;   in Loop: Header=BB34_9 Depth=1
	v_mul_u64_e32 v[8:9], s[14:15], v[8:9]
	v_mul_f64_e32 v[10:11], v[2:3], v[10:11]
	s_delay_alu instid0(VALU_DEP_2)
	v_lshl_add_u64 v[8:9], v[8:9], 3, v[0:1]
	global_load_b64 v[12:13], v[8:9], off
	s_wait_loadcnt 0x0
	v_fmac_f64_e32 v[10:11], v[4:5], v[12:13]
	global_store_b64 v[8:9], v[10:11], off
                                        ; implicit-def: $vgpr10_vgpr11
                                        ; implicit-def: $vgpr8
.LBB34_24:                              ;   in Loop: Header=BB34_9 Depth=1
	s_wait_xcnt 0x0
	s_and_not1_saveexec_b32 s13, s13
	s_cbranch_execz .LBB34_8
; %bb.25:                               ;   in Loop: Header=BB34_9 Depth=1
	v_mul_f64_e32 v[10:11], v[2:3], v[10:11]
	s_and_b32 vcc_lo, exec_lo, s12
	s_mov_b32 s13, -1
	s_cbranch_vccz .LBB34_27
; %bb.26:                               ;   in Loop: Header=BB34_9 Depth=1
	v_lshl_add_u64 v[12:13], v[8:9], 3, v[6:7]
	s_mov_b32 s13, 0
	global_store_b64 v[12:13], v[10:11], off
.LBB34_27:                              ;   in Loop: Header=BB34_9 Depth=1
	s_and_not1_b32 vcc_lo, exec_lo, s13
	s_cbranch_vccnz .LBB34_8
; %bb.28:                               ;   in Loop: Header=BB34_9 Depth=1
	v_mul_u64_e32 v[8:9], s[14:15], v[8:9]
	s_delay_alu instid0(VALU_DEP_1)
	v_lshl_add_u64 v[8:9], v[8:9], 3, v[0:1]
	global_store_b64 v[8:9], v[10:11], off
	s_branch .LBB34_8
.LBB34_29:
	s_endpgm
	.section	.rodata,"a",@progbits
	.p2align	6, 0x0
	.amdhsa_kernel _ZN9rocsparseL29bsrmmnt_small_blockdim_kernelILj64ELj16ELj2EiiddddEEv20rocsparse_direction_T3_S2_llNS_24const_host_device_scalarIT7_EEPKT2_PKS2_PKT4_PKT5_llS5_PT6_ll16rocsparse_order_21rocsparse_index_base_b
		.amdhsa_group_segment_fixed_size 1792
		.amdhsa_private_segment_fixed_size 0
		.amdhsa_kernarg_size 392
		.amdhsa_user_sgpr_count 2
		.amdhsa_user_sgpr_dispatch_ptr 0
		.amdhsa_user_sgpr_queue_ptr 0
		.amdhsa_user_sgpr_kernarg_segment_ptr 1
		.amdhsa_user_sgpr_dispatch_id 0
		.amdhsa_user_sgpr_kernarg_preload_length 0
		.amdhsa_user_sgpr_kernarg_preload_offset 0
		.amdhsa_user_sgpr_private_segment_size 0
		.amdhsa_wavefront_size32 1
		.amdhsa_uses_dynamic_stack 0
		.amdhsa_enable_private_segment 0
		.amdhsa_system_sgpr_workgroup_id_x 1
		.amdhsa_system_sgpr_workgroup_id_y 0
		.amdhsa_system_sgpr_workgroup_id_z 0
		.amdhsa_system_sgpr_workgroup_info 0
		.amdhsa_system_vgpr_workitem_id 0
		.amdhsa_next_free_vgpr 42
		.amdhsa_next_free_sgpr 23
		.amdhsa_named_barrier_count 0
		.amdhsa_reserve_vcc 1
		.amdhsa_float_round_mode_32 0
		.amdhsa_float_round_mode_16_64 0
		.amdhsa_float_denorm_mode_32 3
		.amdhsa_float_denorm_mode_16_64 3
		.amdhsa_fp16_overflow 0
		.amdhsa_memory_ordered 1
		.amdhsa_forward_progress 1
		.amdhsa_inst_pref_size 10
		.amdhsa_round_robin_scheduling 0
		.amdhsa_exception_fp_ieee_invalid_op 0
		.amdhsa_exception_fp_denorm_src 0
		.amdhsa_exception_fp_ieee_div_zero 0
		.amdhsa_exception_fp_ieee_overflow 0
		.amdhsa_exception_fp_ieee_underflow 0
		.amdhsa_exception_fp_ieee_inexact 0
		.amdhsa_exception_int_div_zero 0
	.end_amdhsa_kernel
	.section	.text._ZN9rocsparseL29bsrmmnt_small_blockdim_kernelILj64ELj16ELj2EiiddddEEv20rocsparse_direction_T3_S2_llNS_24const_host_device_scalarIT7_EEPKT2_PKS2_PKT4_PKT5_llS5_PT6_ll16rocsparse_order_21rocsparse_index_base_b,"axG",@progbits,_ZN9rocsparseL29bsrmmnt_small_blockdim_kernelILj64ELj16ELj2EiiddddEEv20rocsparse_direction_T3_S2_llNS_24const_host_device_scalarIT7_EEPKT2_PKS2_PKT4_PKT5_llS5_PT6_ll16rocsparse_order_21rocsparse_index_base_b,comdat
.Lfunc_end34:
	.size	_ZN9rocsparseL29bsrmmnt_small_blockdim_kernelILj64ELj16ELj2EiiddddEEv20rocsparse_direction_T3_S2_llNS_24const_host_device_scalarIT7_EEPKT2_PKS2_PKT4_PKT5_llS5_PT6_ll16rocsparse_order_21rocsparse_index_base_b, .Lfunc_end34-_ZN9rocsparseL29bsrmmnt_small_blockdim_kernelILj64ELj16ELj2EiiddddEEv20rocsparse_direction_T3_S2_llNS_24const_host_device_scalarIT7_EEPKT2_PKS2_PKT4_PKT5_llS5_PT6_ll16rocsparse_order_21rocsparse_index_base_b
                                        ; -- End function
	.set _ZN9rocsparseL29bsrmmnt_small_blockdim_kernelILj64ELj16ELj2EiiddddEEv20rocsparse_direction_T3_S2_llNS_24const_host_device_scalarIT7_EEPKT2_PKS2_PKT4_PKT5_llS5_PT6_ll16rocsparse_order_21rocsparse_index_base_b.num_vgpr, 42
	.set _ZN9rocsparseL29bsrmmnt_small_blockdim_kernelILj64ELj16ELj2EiiddddEEv20rocsparse_direction_T3_S2_llNS_24const_host_device_scalarIT7_EEPKT2_PKS2_PKT4_PKT5_llS5_PT6_ll16rocsparse_order_21rocsparse_index_base_b.num_agpr, 0
	.set _ZN9rocsparseL29bsrmmnt_small_blockdim_kernelILj64ELj16ELj2EiiddddEEv20rocsparse_direction_T3_S2_llNS_24const_host_device_scalarIT7_EEPKT2_PKS2_PKT4_PKT5_llS5_PT6_ll16rocsparse_order_21rocsparse_index_base_b.numbered_sgpr, 23
	.set _ZN9rocsparseL29bsrmmnt_small_blockdim_kernelILj64ELj16ELj2EiiddddEEv20rocsparse_direction_T3_S2_llNS_24const_host_device_scalarIT7_EEPKT2_PKS2_PKT4_PKT5_llS5_PT6_ll16rocsparse_order_21rocsparse_index_base_b.num_named_barrier, 0
	.set _ZN9rocsparseL29bsrmmnt_small_blockdim_kernelILj64ELj16ELj2EiiddddEEv20rocsparse_direction_T3_S2_llNS_24const_host_device_scalarIT7_EEPKT2_PKS2_PKT4_PKT5_llS5_PT6_ll16rocsparse_order_21rocsparse_index_base_b.private_seg_size, 0
	.set _ZN9rocsparseL29bsrmmnt_small_blockdim_kernelILj64ELj16ELj2EiiddddEEv20rocsparse_direction_T3_S2_llNS_24const_host_device_scalarIT7_EEPKT2_PKS2_PKT4_PKT5_llS5_PT6_ll16rocsparse_order_21rocsparse_index_base_b.uses_vcc, 1
	.set _ZN9rocsparseL29bsrmmnt_small_blockdim_kernelILj64ELj16ELj2EiiddddEEv20rocsparse_direction_T3_S2_llNS_24const_host_device_scalarIT7_EEPKT2_PKS2_PKT4_PKT5_llS5_PT6_ll16rocsparse_order_21rocsparse_index_base_b.uses_flat_scratch, 0
	.set _ZN9rocsparseL29bsrmmnt_small_blockdim_kernelILj64ELj16ELj2EiiddddEEv20rocsparse_direction_T3_S2_llNS_24const_host_device_scalarIT7_EEPKT2_PKS2_PKT4_PKT5_llS5_PT6_ll16rocsparse_order_21rocsparse_index_base_b.has_dyn_sized_stack, 0
	.set _ZN9rocsparseL29bsrmmnt_small_blockdim_kernelILj64ELj16ELj2EiiddddEEv20rocsparse_direction_T3_S2_llNS_24const_host_device_scalarIT7_EEPKT2_PKS2_PKT4_PKT5_llS5_PT6_ll16rocsparse_order_21rocsparse_index_base_b.has_recursion, 0
	.set _ZN9rocsparseL29bsrmmnt_small_blockdim_kernelILj64ELj16ELj2EiiddddEEv20rocsparse_direction_T3_S2_llNS_24const_host_device_scalarIT7_EEPKT2_PKS2_PKT4_PKT5_llS5_PT6_ll16rocsparse_order_21rocsparse_index_base_b.has_indirect_call, 0
	.section	.AMDGPU.csdata,"",@progbits
; Kernel info:
; codeLenInByte = 1280
; TotalNumSgprs: 25
; NumVgprs: 42
; ScratchSize: 0
; MemoryBound: 0
; FloatMode: 240
; IeeeMode: 1
; LDSByteSize: 1792 bytes/workgroup (compile time only)
; SGPRBlocks: 0
; VGPRBlocks: 2
; NumSGPRsForWavesPerEU: 25
; NumVGPRsForWavesPerEU: 42
; NamedBarCnt: 0
; Occupancy: 16
; WaveLimiterHint : 1
; COMPUTE_PGM_RSRC2:SCRATCH_EN: 0
; COMPUTE_PGM_RSRC2:USER_SGPR: 2
; COMPUTE_PGM_RSRC2:TRAP_HANDLER: 0
; COMPUTE_PGM_RSRC2:TGID_X_EN: 1
; COMPUTE_PGM_RSRC2:TGID_Y_EN: 0
; COMPUTE_PGM_RSRC2:TGID_Z_EN: 0
; COMPUTE_PGM_RSRC2:TIDIG_COMP_CNT: 0
	.section	.text._ZN9rocsparseL29bsrmmnt_small_blockdim_kernelILj64ELj32ELj2EiiddddEEv20rocsparse_direction_T3_S2_llNS_24const_host_device_scalarIT7_EEPKT2_PKS2_PKT4_PKT5_llS5_PT6_ll16rocsparse_order_21rocsparse_index_base_b,"axG",@progbits,_ZN9rocsparseL29bsrmmnt_small_blockdim_kernelILj64ELj32ELj2EiiddddEEv20rocsparse_direction_T3_S2_llNS_24const_host_device_scalarIT7_EEPKT2_PKS2_PKT4_PKT5_llS5_PT6_ll16rocsparse_order_21rocsparse_index_base_b,comdat
	.globl	_ZN9rocsparseL29bsrmmnt_small_blockdim_kernelILj64ELj32ELj2EiiddddEEv20rocsparse_direction_T3_S2_llNS_24const_host_device_scalarIT7_EEPKT2_PKS2_PKT4_PKT5_llS5_PT6_ll16rocsparse_order_21rocsparse_index_base_b ; -- Begin function _ZN9rocsparseL29bsrmmnt_small_blockdim_kernelILj64ELj32ELj2EiiddddEEv20rocsparse_direction_T3_S2_llNS_24const_host_device_scalarIT7_EEPKT2_PKS2_PKT4_PKT5_llS5_PT6_ll16rocsparse_order_21rocsparse_index_base_b
	.p2align	8
	.type	_ZN9rocsparseL29bsrmmnt_small_blockdim_kernelILj64ELj32ELj2EiiddddEEv20rocsparse_direction_T3_S2_llNS_24const_host_device_scalarIT7_EEPKT2_PKS2_PKT4_PKT5_llS5_PT6_ll16rocsparse_order_21rocsparse_index_base_b,@function
_ZN9rocsparseL29bsrmmnt_small_blockdim_kernelILj64ELj32ELj2EiiddddEEv20rocsparse_direction_T3_S2_llNS_24const_host_device_scalarIT7_EEPKT2_PKS2_PKT4_PKT5_llS5_PT6_ll16rocsparse_order_21rocsparse_index_base_b: ; @_ZN9rocsparseL29bsrmmnt_small_blockdim_kernelILj64ELj32ELj2EiiddddEEv20rocsparse_direction_T3_S2_llNS_24const_host_device_scalarIT7_EEPKT2_PKS2_PKT4_PKT5_llS5_PT6_ll16rocsparse_order_21rocsparse_index_base_b
; %bb.0:
	s_clause 0x2
	s_load_b96 s[16:18], s[0:1], 0x78
	s_load_b64 s[4:5], s[0:1], 0x20
	s_load_b64 s[2:3], s[0:1], 0x58
	s_wait_kmcnt 0x0
	s_bitcmp1_b32 s18, 0
	v_mov_b64_e32 v[2:3], s[4:5]
	s_cselect_b32 s6, -1, 0
	s_delay_alu instid0(SALU_CYCLE_1)
	s_and_b32 vcc_lo, exec_lo, s6
	s_xor_b32 s6, s6, -1
	s_cbranch_vccnz .LBB35_2
; %bb.1:
	v_mov_b32_e32 v1, 0
	flat_load_b64 v[2:3], v1, s[4:5]
.LBB35_2:
	v_mov_b64_e32 v[4:5], s[2:3]
	s_and_not1_b32 vcc_lo, exec_lo, s6
	s_cbranch_vccnz .LBB35_4
; %bb.3:
	s_wait_xcnt 0x0
	v_mov_b32_e32 v1, 0
	flat_load_b64 v[4:5], v1, s[2:3]
.LBB35_4:
	s_wait_loadcnt_dscnt 0x0
	v_cmp_neq_f64_e32 vcc_lo, 0, v[2:3]
	s_delay_alu instid0(VALU_DEP_2) | instskip(SKIP_1) | instid1(SALU_CYCLE_1)
	v_cmp_neq_f64_e64 s2, 1.0, v[4:5]
	s_or_b32 s2, vcc_lo, s2
	s_and_saveexec_b32 s3, s2
	s_cbranch_execz .LBB35_29
; %bb.5:
	s_clause 0x1
	s_load_b32 s2, s[0:1], 0x94
	s_load_b96 s[20:22], s[0:1], 0x0
	s_bfe_u32 s3, ttmp6, 0x4000c
	s_and_b32 s4, ttmp6, 15
	s_add_co_i32 s3, s3, 1
	s_getreg_b32 s5, hwreg(HW_REG_IB_STS2, 6, 4)
	s_mul_i32 s3, ttmp9, s3
	s_delay_alu instid0(SALU_CYCLE_1) | instskip(SKIP_4) | instid1(SALU_CYCLE_1)
	s_add_co_i32 s4, s4, s3
	s_wait_kmcnt 0x0
	s_and_b32 s2, s2, 0xffff
	s_cmp_eq_u32 s5, 0
	s_cselect_b32 s3, ttmp9, s4
	v_mad_u32 v1, s3, s2, v0
	s_delay_alu instid0(VALU_DEP_1) | instskip(NEXT) | instid1(VALU_DEP_1)
	v_lshrrev_b32_e32 v6, 6, v1
	v_cmp_gt_i32_e32 vcc_lo, s21, v6
	s_and_b32 exec_lo, exec_lo, vcc_lo
	s_cbranch_execz .LBB35_29
; %bb.6:
	s_cmp_lt_i32 s22, 1
	s_cbranch_scc1 .LBB35_29
; %bb.7:
	s_load_b256 s[4:11], s[0:1], 0x28
	v_dual_mov_b32 v7, 0 :: v_dual_lshlrev_b32 v6, 2, v6
	s_load_b128 s[12:15], s[0:1], 0x60
	s_cmp_eq_u32 s20, 0
	s_mov_b32 s3, 0
	s_cselect_b32 vcc_lo, -1, 0
	s_cmp_lg_u32 s16, 1
	v_lshrrev_b32_e32 v12, 5, v0
	s_delay_alu instid0(VALU_DEP_1)
	v_lshl_or_b32 v19, v12, 7, 0x600
	v_mul_u32_u24_e32 v20, 0x300, v12
	s_wait_kmcnt 0x0
	global_load_b64 v[8:9], v6, s[4:5]
	s_wait_xcnt 0x0
	v_lshrrev_b32_e32 v6, 5, v1
	s_load_b64 s[4:5], s[0:1], 0x48
	s_wait_xcnt 0x0
	v_cmp_neq_f64_e64 s0, 0, v[4:5]
	v_bfe_u32 v1, v1, 5, 1
	v_and_b32_e32 v18, 31, v0
	v_mul_u64_e32 v[10:11], s[14:15], v[6:7]
	s_delay_alu instid0(VALU_DEP_3) | instskip(SKIP_1) | instid1(VALU_DEP_4)
	v_dual_lshlrev_b32 v6, 3, v6 :: v_dual_bitop2_b32 v13, 2, v1 bitop3:0x54
	v_lshlrev_b32_e32 v0, 1, v1
	v_mul_u32_u24_e32 v12, 24, v18
	v_lshl_or_b32 v21, v18, 2, v19
	s_delay_alu instid0(VALU_DEP_3) | instskip(SKIP_1) | instid1(VALU_DEP_2)
	v_dual_cndmask_b32 v22, v1, v0, vcc_lo :: v_dual_bitop2_b32 v14, 1, v0 bitop3:0x54
	v_add_nc_u64_e32 v[0:1], s[12:13], v[6:7]
	v_dual_cndmask_b32 v23, v13, v14 :: v_dual_add_nc_u32 v26, v20, v12
	v_lshl_add_u64 v[6:7], v[10:11], 3, s[12:13]
	s_cselect_b32 s12, -1, 0
	s_wait_loadcnt 0x0
	v_subrev_nc_u32_e32 v24, s17, v8
	v_subrev_nc_u32_e32 v25, s17, v9
	v_cmp_lt_i32_e64 s1, v8, v9
	s_branch .LBB35_9
.LBB35_8:                               ;   in Loop: Header=BB35_9 Depth=1
	s_wait_xcnt 0x0
	s_or_b32 exec_lo, exec_lo, s2
	s_add_co_i32 s3, s3, 32
	s_delay_alu instid0(SALU_CYCLE_1)
	s_cmp_lt_i32 s3, s22
	s_cbranch_scc0 .LBB35_29
.LBB35_9:                               ; =>This Loop Header: Depth=1
                                        ;     Child Loop BB35_12 Depth 2
                                        ;       Child Loop BB35_16 Depth 3
	v_or_b32_e32 v8, s3, v18
	v_mov_b64_e32 v[10:11], 0
	s_delay_alu instid0(VALU_DEP_2)
	v_ashrrev_i32_e32 v9, 31, v8
	s_and_saveexec_b32 s13, s1
	s_cbranch_execz .LBB35_18
; %bb.10:                               ;   in Loop: Header=BB35_9 Depth=1
	v_mov_b64_e32 v[10:11], 0
	s_delay_alu instid0(VALU_DEP_2)
	v_lshl_add_u64 v[12:13], v[8:9], 3, s[10:11]
	v_mov_b32_e32 v27, v24
	s_mov_b32 s16, 0
	v_cmp_gt_i32_e32 vcc_lo, s22, v8
	s_branch .LBB35_12
.LBB35_11:                              ;   in Loop: Header=BB35_12 Depth=2
	s_wait_xcnt 0x0
	s_or_b32 exec_lo, exec_lo, s2
	v_add_nc_u32_e32 v27, 32, v27
	s_delay_alu instid0(VALU_DEP_1) | instskip(SKIP_1) | instid1(SALU_CYCLE_1)
	v_cmp_ge_i32_e64 s2, v27, v25
	s_or_b32 s16, s2, s16
	s_and_not1_b32 exec_lo, exec_lo, s16
	s_cbranch_execz .LBB35_17
.LBB35_12:                              ;   Parent Loop BB35_9 Depth=1
                                        ; =>  This Loop Header: Depth=2
                                        ;       Child Loop BB35_16 Depth 3
	v_mov_b64_e32 v[14:15], 0
	v_mov_b64_e32 v[16:17], 0
	v_dual_mov_b32 v29, 0 :: v_dual_add_nc_u32 v28, v27, v18
	s_mov_b32 s18, exec_lo
	s_delay_alu instid0(VALU_DEP_1)
	v_cmpx_lt_i32_e64 v28, v25
	s_cbranch_execz .LBB35_14
; %bb.13:                               ;   in Loop: Header=BB35_12 Depth=2
	v_lshlrev_b32_e32 v14, 2, v28
	global_load_b32 v28, v28, s[6:7] scale_offset
	v_or_b32_e32 v29, v14, v22
	v_or_b32_e32 v30, v14, v23
	s_clause 0x1
	global_load_b64 v[14:15], v29, s[8:9] scale_offset
	global_load_b64 v[16:17], v30, s[8:9] scale_offset
	s_wait_loadcnt 0x2
	s_wait_xcnt 0x2
	v_subrev_nc_u32_e32 v28, s17, v28
	s_wait_xcnt 0x1
	s_delay_alu instid0(VALU_DEP_1)
	v_lshlrev_b32_e32 v29, 1, v28
.LBB35_14:                              ;   in Loop: Header=BB35_12 Depth=2
	s_wait_xcnt 0x0
	s_or_b32 exec_lo, exec_lo, s18
	ds_store_b32 v21, v29
	s_wait_loadcnt 0x0
	ds_store_2addr_b64 v26, v[14:15], v[16:17] offset1:1
	s_wait_dscnt 0x0
	s_barrier_signal -1
	s_barrier_wait -1
	s_and_saveexec_b32 s2, vcc_lo
	s_cbranch_execz .LBB35_11
; %bb.15:                               ;   in Loop: Header=BB35_12 Depth=2
	v_mov_b32_e32 v14, v20
	s_mov_b32 s18, 0
.LBB35_16:                              ;   Parent Loop BB35_9 Depth=1
                                        ;     Parent Loop BB35_12 Depth=2
                                        ; =>    This Inner Loop Header: Depth=3
	s_delay_alu instid0(SALU_CYCLE_1) | instskip(SKIP_1) | instid1(SALU_CYCLE_1)
	v_add_nc_u32_e32 v15, s18, v19
	s_add_co_i32 s18, s18, 8
	s_cmp_lg_u32 s18, 0x80
	s_wait_xcnt 0x0
	ds_load_b64 v[16:17], v15
	s_wait_dscnt 0x0
	v_dual_mov_b32 v28, v16 :: v_dual_ashrrev_i32 v29, 31, v16
	v_dual_add_nc_u32 v30, 1, v16 :: v_dual_add_nc_u32 v16, 1, v17
	s_wait_kmcnt 0x0
	s_delay_alu instid0(VALU_DEP_2) | instskip(NEXT) | instid1(VALU_DEP_2)
	v_mul_u64_e32 v[28:29], s[4:5], v[28:29]
	v_ashrrev_i32_e32 v31, 31, v30
	s_delay_alu instid0(VALU_DEP_1) | instskip(NEXT) | instid1(VALU_DEP_3)
	v_mul_u64_e32 v[30:31], s[4:5], v[30:31]
	v_lshl_add_u64 v[28:29], v[28:29], 3, v[12:13]
	global_load_b64 v[36:37], v[28:29], off
	v_lshl_add_u64 v[30:31], v[30:31], 3, v[12:13]
	global_load_b64 v[38:39], v[30:31], off
	s_wait_xcnt 0x1
	v_dual_mov_b32 v28, v17 :: v_dual_ashrrev_i32 v29, 31, v17
	v_ashrrev_i32_e32 v17, 31, v16
	s_delay_alu instid0(VALU_DEP_2) | instskip(NEXT) | instid1(VALU_DEP_2)
	v_mul_u64_e32 v[28:29], s[4:5], v[28:29]
	v_mul_u64_e32 v[16:17], s[4:5], v[16:17]
	s_delay_alu instid0(VALU_DEP_2) | instskip(NEXT) | instid1(VALU_DEP_2)
	v_lshl_add_u64 v[28:29], v[28:29], 3, v[12:13]
	v_lshl_add_u64 v[16:17], v[16:17], 3, v[12:13]
	s_clause 0x1
	global_load_b64 v[40:41], v[28:29], off
	global_load_b64 v[16:17], v[16:17], off
	s_wait_xcnt 0x1
	ds_load_b128 v[28:31], v14
	ds_load_2addr_b64 v[32:35], v14 offset0:3 offset1:4
	v_add_nc_u32_e32 v14, 48, v14
	s_wait_loadcnt_dscnt 0x301
	v_fmac_f64_e32 v[10:11], v[28:29], v[36:37]
	s_wait_loadcnt 0x2
	s_delay_alu instid0(VALU_DEP_1) | instskip(SKIP_1) | instid1(VALU_DEP_1)
	v_fmac_f64_e32 v[10:11], v[30:31], v[38:39]
	s_wait_loadcnt_dscnt 0x100
	v_fmac_f64_e32 v[10:11], v[32:33], v[40:41]
	s_wait_loadcnt 0x0
	s_delay_alu instid0(VALU_DEP_1)
	v_fmac_f64_e32 v[10:11], v[34:35], v[16:17]
	s_cbranch_scc1 .LBB35_16
	s_branch .LBB35_11
.LBB35_17:                              ;   in Loop: Header=BB35_9 Depth=1
	s_or_b32 exec_lo, exec_lo, s16
.LBB35_18:                              ;   in Loop: Header=BB35_9 Depth=1
	s_delay_alu instid0(SALU_CYCLE_1) | instskip(NEXT) | instid1(SALU_CYCLE_1)
	s_or_b32 exec_lo, exec_lo, s13
	s_mov_b32 s2, exec_lo
	v_cmpx_gt_i32_e64 s22, v8
	s_cbranch_execz .LBB35_8
; %bb.19:                               ;   in Loop: Header=BB35_9 Depth=1
	s_and_saveexec_b32 s13, s0
	s_delay_alu instid0(SALU_CYCLE_1)
	s_xor_b32 s13, exec_lo, s13
	s_cbranch_execz .LBB35_24
; %bb.20:                               ;   in Loop: Header=BB35_9 Depth=1
	s_and_b32 vcc_lo, exec_lo, s12
	s_mov_b32 s16, -1
	s_cbranch_vccz .LBB35_22
; %bb.21:                               ;   in Loop: Header=BB35_9 Depth=1
	v_lshl_add_u64 v[12:13], v[8:9], 3, v[6:7]
	v_mul_f64_e32 v[16:17], v[2:3], v[10:11]
	s_mov_b32 s16, 0
	global_load_b64 v[14:15], v[12:13], off
	s_wait_loadcnt 0x0
	v_fmac_f64_e32 v[16:17], v[4:5], v[14:15]
	global_store_b64 v[12:13], v[16:17], off
.LBB35_22:                              ;   in Loop: Header=BB35_9 Depth=1
	s_and_not1_b32 vcc_lo, exec_lo, s16
	s_cbranch_vccnz .LBB35_24
; %bb.23:                               ;   in Loop: Header=BB35_9 Depth=1
	v_mul_u64_e32 v[8:9], s[14:15], v[8:9]
	v_mul_f64_e32 v[10:11], v[2:3], v[10:11]
	s_delay_alu instid0(VALU_DEP_2)
	v_lshl_add_u64 v[8:9], v[8:9], 3, v[0:1]
	global_load_b64 v[12:13], v[8:9], off
	s_wait_loadcnt 0x0
	v_fmac_f64_e32 v[10:11], v[4:5], v[12:13]
	global_store_b64 v[8:9], v[10:11], off
                                        ; implicit-def: $vgpr10_vgpr11
                                        ; implicit-def: $vgpr8
.LBB35_24:                              ;   in Loop: Header=BB35_9 Depth=1
	s_wait_xcnt 0x0
	s_and_not1_saveexec_b32 s13, s13
	s_cbranch_execz .LBB35_8
; %bb.25:                               ;   in Loop: Header=BB35_9 Depth=1
	v_mul_f64_e32 v[10:11], v[2:3], v[10:11]
	s_and_b32 vcc_lo, exec_lo, s12
	s_mov_b32 s13, -1
	s_cbranch_vccz .LBB35_27
; %bb.26:                               ;   in Loop: Header=BB35_9 Depth=1
	v_lshl_add_u64 v[12:13], v[8:9], 3, v[6:7]
	s_mov_b32 s13, 0
	global_store_b64 v[12:13], v[10:11], off
.LBB35_27:                              ;   in Loop: Header=BB35_9 Depth=1
	s_and_not1_b32 vcc_lo, exec_lo, s13
	s_cbranch_vccnz .LBB35_8
; %bb.28:                               ;   in Loop: Header=BB35_9 Depth=1
	v_mul_u64_e32 v[8:9], s[14:15], v[8:9]
	s_delay_alu instid0(VALU_DEP_1)
	v_lshl_add_u64 v[8:9], v[8:9], 3, v[0:1]
	global_store_b64 v[8:9], v[10:11], off
	s_branch .LBB35_8
.LBB35_29:
	s_endpgm
	.section	.rodata,"a",@progbits
	.p2align	6, 0x0
	.amdhsa_kernel _ZN9rocsparseL29bsrmmnt_small_blockdim_kernelILj64ELj32ELj2EiiddddEEv20rocsparse_direction_T3_S2_llNS_24const_host_device_scalarIT7_EEPKT2_PKS2_PKT4_PKT5_llS5_PT6_ll16rocsparse_order_21rocsparse_index_base_b
		.amdhsa_group_segment_fixed_size 1792
		.amdhsa_private_segment_fixed_size 0
		.amdhsa_kernarg_size 392
		.amdhsa_user_sgpr_count 2
		.amdhsa_user_sgpr_dispatch_ptr 0
		.amdhsa_user_sgpr_queue_ptr 0
		.amdhsa_user_sgpr_kernarg_segment_ptr 1
		.amdhsa_user_sgpr_dispatch_id 0
		.amdhsa_user_sgpr_kernarg_preload_length 0
		.amdhsa_user_sgpr_kernarg_preload_offset 0
		.amdhsa_user_sgpr_private_segment_size 0
		.amdhsa_wavefront_size32 1
		.amdhsa_uses_dynamic_stack 0
		.amdhsa_enable_private_segment 0
		.amdhsa_system_sgpr_workgroup_id_x 1
		.amdhsa_system_sgpr_workgroup_id_y 0
		.amdhsa_system_sgpr_workgroup_id_z 0
		.amdhsa_system_sgpr_workgroup_info 0
		.amdhsa_system_vgpr_workitem_id 0
		.amdhsa_next_free_vgpr 42
		.amdhsa_next_free_sgpr 23
		.amdhsa_named_barrier_count 0
		.amdhsa_reserve_vcc 1
		.amdhsa_float_round_mode_32 0
		.amdhsa_float_round_mode_16_64 0
		.amdhsa_float_denorm_mode_32 3
		.amdhsa_float_denorm_mode_16_64 3
		.amdhsa_fp16_overflow 0
		.amdhsa_memory_ordered 1
		.amdhsa_forward_progress 1
		.amdhsa_inst_pref_size 11
		.amdhsa_round_robin_scheduling 0
		.amdhsa_exception_fp_ieee_invalid_op 0
		.amdhsa_exception_fp_denorm_src 0
		.amdhsa_exception_fp_ieee_div_zero 0
		.amdhsa_exception_fp_ieee_overflow 0
		.amdhsa_exception_fp_ieee_underflow 0
		.amdhsa_exception_fp_ieee_inexact 0
		.amdhsa_exception_int_div_zero 0
	.end_amdhsa_kernel
	.section	.text._ZN9rocsparseL29bsrmmnt_small_blockdim_kernelILj64ELj32ELj2EiiddddEEv20rocsparse_direction_T3_S2_llNS_24const_host_device_scalarIT7_EEPKT2_PKS2_PKT4_PKT5_llS5_PT6_ll16rocsparse_order_21rocsparse_index_base_b,"axG",@progbits,_ZN9rocsparseL29bsrmmnt_small_blockdim_kernelILj64ELj32ELj2EiiddddEEv20rocsparse_direction_T3_S2_llNS_24const_host_device_scalarIT7_EEPKT2_PKS2_PKT4_PKT5_llS5_PT6_ll16rocsparse_order_21rocsparse_index_base_b,comdat
.Lfunc_end35:
	.size	_ZN9rocsparseL29bsrmmnt_small_blockdim_kernelILj64ELj32ELj2EiiddddEEv20rocsparse_direction_T3_S2_llNS_24const_host_device_scalarIT7_EEPKT2_PKS2_PKT4_PKT5_llS5_PT6_ll16rocsparse_order_21rocsparse_index_base_b, .Lfunc_end35-_ZN9rocsparseL29bsrmmnt_small_blockdim_kernelILj64ELj32ELj2EiiddddEEv20rocsparse_direction_T3_S2_llNS_24const_host_device_scalarIT7_EEPKT2_PKS2_PKT4_PKT5_llS5_PT6_ll16rocsparse_order_21rocsparse_index_base_b
                                        ; -- End function
	.set _ZN9rocsparseL29bsrmmnt_small_blockdim_kernelILj64ELj32ELj2EiiddddEEv20rocsparse_direction_T3_S2_llNS_24const_host_device_scalarIT7_EEPKT2_PKS2_PKT4_PKT5_llS5_PT6_ll16rocsparse_order_21rocsparse_index_base_b.num_vgpr, 42
	.set _ZN9rocsparseL29bsrmmnt_small_blockdim_kernelILj64ELj32ELj2EiiddddEEv20rocsparse_direction_T3_S2_llNS_24const_host_device_scalarIT7_EEPKT2_PKS2_PKT4_PKT5_llS5_PT6_ll16rocsparse_order_21rocsparse_index_base_b.num_agpr, 0
	.set _ZN9rocsparseL29bsrmmnt_small_blockdim_kernelILj64ELj32ELj2EiiddddEEv20rocsparse_direction_T3_S2_llNS_24const_host_device_scalarIT7_EEPKT2_PKS2_PKT4_PKT5_llS5_PT6_ll16rocsparse_order_21rocsparse_index_base_b.numbered_sgpr, 23
	.set _ZN9rocsparseL29bsrmmnt_small_blockdim_kernelILj64ELj32ELj2EiiddddEEv20rocsparse_direction_T3_S2_llNS_24const_host_device_scalarIT7_EEPKT2_PKS2_PKT4_PKT5_llS5_PT6_ll16rocsparse_order_21rocsparse_index_base_b.num_named_barrier, 0
	.set _ZN9rocsparseL29bsrmmnt_small_blockdim_kernelILj64ELj32ELj2EiiddddEEv20rocsparse_direction_T3_S2_llNS_24const_host_device_scalarIT7_EEPKT2_PKS2_PKT4_PKT5_llS5_PT6_ll16rocsparse_order_21rocsparse_index_base_b.private_seg_size, 0
	.set _ZN9rocsparseL29bsrmmnt_small_blockdim_kernelILj64ELj32ELj2EiiddddEEv20rocsparse_direction_T3_S2_llNS_24const_host_device_scalarIT7_EEPKT2_PKS2_PKT4_PKT5_llS5_PT6_ll16rocsparse_order_21rocsparse_index_base_b.uses_vcc, 1
	.set _ZN9rocsparseL29bsrmmnt_small_blockdim_kernelILj64ELj32ELj2EiiddddEEv20rocsparse_direction_T3_S2_llNS_24const_host_device_scalarIT7_EEPKT2_PKS2_PKT4_PKT5_llS5_PT6_ll16rocsparse_order_21rocsparse_index_base_b.uses_flat_scratch, 0
	.set _ZN9rocsparseL29bsrmmnt_small_blockdim_kernelILj64ELj32ELj2EiiddddEEv20rocsparse_direction_T3_S2_llNS_24const_host_device_scalarIT7_EEPKT2_PKS2_PKT4_PKT5_llS5_PT6_ll16rocsparse_order_21rocsparse_index_base_b.has_dyn_sized_stack, 0
	.set _ZN9rocsparseL29bsrmmnt_small_blockdim_kernelILj64ELj32ELj2EiiddddEEv20rocsparse_direction_T3_S2_llNS_24const_host_device_scalarIT7_EEPKT2_PKS2_PKT4_PKT5_llS5_PT6_ll16rocsparse_order_21rocsparse_index_base_b.has_recursion, 0
	.set _ZN9rocsparseL29bsrmmnt_small_blockdim_kernelILj64ELj32ELj2EiiddddEEv20rocsparse_direction_T3_S2_llNS_24const_host_device_scalarIT7_EEPKT2_PKS2_PKT4_PKT5_llS5_PT6_ll16rocsparse_order_21rocsparse_index_base_b.has_indirect_call, 0
	.section	.AMDGPU.csdata,"",@progbits
; Kernel info:
; codeLenInByte = 1284
; TotalNumSgprs: 25
; NumVgprs: 42
; ScratchSize: 0
; MemoryBound: 0
; FloatMode: 240
; IeeeMode: 1
; LDSByteSize: 1792 bytes/workgroup (compile time only)
; SGPRBlocks: 0
; VGPRBlocks: 2
; NumSGPRsForWavesPerEU: 25
; NumVGPRsForWavesPerEU: 42
; NamedBarCnt: 0
; Occupancy: 16
; WaveLimiterHint : 1
; COMPUTE_PGM_RSRC2:SCRATCH_EN: 0
; COMPUTE_PGM_RSRC2:USER_SGPR: 2
; COMPUTE_PGM_RSRC2:TRAP_HANDLER: 0
; COMPUTE_PGM_RSRC2:TGID_X_EN: 1
; COMPUTE_PGM_RSRC2:TGID_Y_EN: 0
; COMPUTE_PGM_RSRC2:TGID_Z_EN: 0
; COMPUTE_PGM_RSRC2:TIDIG_COMP_CNT: 0
	.section	.text._ZN9rocsparseL29bsrmmnt_small_blockdim_kernelILj64ELj64ELj2EiiddddEEv20rocsparse_direction_T3_S2_llNS_24const_host_device_scalarIT7_EEPKT2_PKS2_PKT4_PKT5_llS5_PT6_ll16rocsparse_order_21rocsparse_index_base_b,"axG",@progbits,_ZN9rocsparseL29bsrmmnt_small_blockdim_kernelILj64ELj64ELj2EiiddddEEv20rocsparse_direction_T3_S2_llNS_24const_host_device_scalarIT7_EEPKT2_PKS2_PKT4_PKT5_llS5_PT6_ll16rocsparse_order_21rocsparse_index_base_b,comdat
	.globl	_ZN9rocsparseL29bsrmmnt_small_blockdim_kernelILj64ELj64ELj2EiiddddEEv20rocsparse_direction_T3_S2_llNS_24const_host_device_scalarIT7_EEPKT2_PKS2_PKT4_PKT5_llS5_PT6_ll16rocsparse_order_21rocsparse_index_base_b ; -- Begin function _ZN9rocsparseL29bsrmmnt_small_blockdim_kernelILj64ELj64ELj2EiiddddEEv20rocsparse_direction_T3_S2_llNS_24const_host_device_scalarIT7_EEPKT2_PKS2_PKT4_PKT5_llS5_PT6_ll16rocsparse_order_21rocsparse_index_base_b
	.p2align	8
	.type	_ZN9rocsparseL29bsrmmnt_small_blockdim_kernelILj64ELj64ELj2EiiddddEEv20rocsparse_direction_T3_S2_llNS_24const_host_device_scalarIT7_EEPKT2_PKS2_PKT4_PKT5_llS5_PT6_ll16rocsparse_order_21rocsparse_index_base_b,@function
_ZN9rocsparseL29bsrmmnt_small_blockdim_kernelILj64ELj64ELj2EiiddddEEv20rocsparse_direction_T3_S2_llNS_24const_host_device_scalarIT7_EEPKT2_PKS2_PKT4_PKT5_llS5_PT6_ll16rocsparse_order_21rocsparse_index_base_b: ; @_ZN9rocsparseL29bsrmmnt_small_blockdim_kernelILj64ELj64ELj2EiiddddEEv20rocsparse_direction_T3_S2_llNS_24const_host_device_scalarIT7_EEPKT2_PKS2_PKT4_PKT5_llS5_PT6_ll16rocsparse_order_21rocsparse_index_base_b
; %bb.0:
	s_clause 0x2
	s_load_b96 s[16:18], s[0:1], 0x78
	s_load_b64 s[4:5], s[0:1], 0x20
	s_load_b64 s[2:3], s[0:1], 0x58
	s_wait_kmcnt 0x0
	s_bitcmp1_b32 s18, 0
	v_mov_b64_e32 v[2:3], s[4:5]
	s_cselect_b32 s6, -1, 0
	s_delay_alu instid0(SALU_CYCLE_1)
	s_and_b32 vcc_lo, exec_lo, s6
	s_xor_b32 s6, s6, -1
	s_cbranch_vccnz .LBB36_2
; %bb.1:
	v_mov_b32_e32 v1, 0
	flat_load_b64 v[2:3], v1, s[4:5]
.LBB36_2:
	v_mov_b64_e32 v[4:5], s[2:3]
	s_and_not1_b32 vcc_lo, exec_lo, s6
	s_cbranch_vccnz .LBB36_4
; %bb.3:
	s_wait_xcnt 0x0
	v_mov_b32_e32 v1, 0
	flat_load_b64 v[4:5], v1, s[2:3]
.LBB36_4:
	s_wait_loadcnt_dscnt 0x0
	v_cmp_neq_f64_e32 vcc_lo, 0, v[2:3]
	s_delay_alu instid0(VALU_DEP_2) | instskip(SKIP_1) | instid1(SALU_CYCLE_1)
	v_cmp_neq_f64_e64 s2, 1.0, v[4:5]
	s_or_b32 s2, vcc_lo, s2
	s_and_saveexec_b32 s3, s2
	s_cbranch_execz .LBB36_29
; %bb.5:
	s_clause 0x1
	s_load_b32 s2, s[0:1], 0x94
	s_load_b96 s[20:22], s[0:1], 0x0
	s_bfe_u32 s3, ttmp6, 0x4000c
	s_and_b32 s4, ttmp6, 15
	s_add_co_i32 s3, s3, 1
	s_getreg_b32 s5, hwreg(HW_REG_IB_STS2, 6, 4)
	s_mul_i32 s3, ttmp9, s3
	s_delay_alu instid0(SALU_CYCLE_1) | instskip(SKIP_4) | instid1(SALU_CYCLE_1)
	s_add_co_i32 s4, s4, s3
	s_wait_kmcnt 0x0
	s_and_b32 s2, s2, 0xffff
	s_cmp_eq_u32 s5, 0
	s_cselect_b32 s3, ttmp9, s4
	v_mad_u32 v1, s3, s2, v0
	s_delay_alu instid0(VALU_DEP_1) | instskip(NEXT) | instid1(VALU_DEP_1)
	v_lshrrev_b32_e32 v6, 7, v1
	v_cmp_gt_i32_e32 vcc_lo, s21, v6
	s_and_b32 exec_lo, exec_lo, vcc_lo
	s_cbranch_execz .LBB36_29
; %bb.6:
	s_cmp_lt_i32 s22, 1
	s_cbranch_scc1 .LBB36_29
; %bb.7:
	s_load_b256 s[4:11], s[0:1], 0x28
	v_dual_mov_b32 v7, 0 :: v_dual_lshlrev_b32 v6, 2, v6
	s_load_b128 s[12:15], s[0:1], 0x60
	v_bfe_u32 v12, v1, 6, 1
	s_cmp_eq_u32 s20, 0
	v_mul_u32_u24_e32 v20, 24, v0
	s_cselect_b32 vcc_lo, -1, 0
	s_cmp_lg_u32 s16, 1
	s_mov_b32 s3, 0
	v_dual_lshlrev_b32 v13, 1, v12 :: v_dual_bitop2_b32 v14, 2, v12 bitop3:0x54
	s_delay_alu instid0(VALU_DEP_1)
	v_dual_cndmask_b32 v21, v12, v13, vcc_lo :: v_dual_bitop2_b32 v15, 1, v13 bitop3:0x54
	s_wait_kmcnt 0x0
	global_load_b64 v[10:11], v6, s[4:5]
	s_wait_xcnt 0x0
	v_lshrrev_b32_e32 v6, 6, v1
	s_load_b64 s[4:5], s[0:1], 0x48
	s_wait_xcnt 0x0
	v_cmp_neq_f64_e64 s0, 0, v[4:5]
	v_lshl_or_b32 v1, v0, 2, 0x600
	v_cndmask_b32_e32 v24, v14, v15, vcc_lo
	v_mul_u64_e32 v[8:9], s[14:15], v[6:7]
	v_lshlrev_b32_e32 v6, 3, v6
	s_delay_alu instid0(VALU_DEP_1) | instskip(NEXT) | instid1(VALU_DEP_3)
	v_add_nc_u64_e32 v[6:7], s[12:13], v[6:7]
	v_lshl_add_u64 v[8:9], v[8:9], 3, s[12:13]
	s_cselect_b32 s12, -1, 0
	s_wait_loadcnt 0x0
	v_subrev_nc_u32_e32 v22, s17, v10
	v_subrev_nc_u32_e32 v23, s17, v11
	v_cmp_lt_i32_e64 s1, v10, v11
	s_branch .LBB36_9
.LBB36_8:                               ;   in Loop: Header=BB36_9 Depth=1
	s_wait_xcnt 0x0
	s_or_b32 exec_lo, exec_lo, s2
	s_add_co_i32 s3, s3, 64
	s_delay_alu instid0(SALU_CYCLE_1)
	s_cmp_lt_i32 s3, s22
	s_cbranch_scc0 .LBB36_29
.LBB36_9:                               ; =>This Loop Header: Depth=1
                                        ;     Child Loop BB36_12 Depth 2
                                        ;       Child Loop BB36_16 Depth 3
	v_or_b32_e32 v10, s3, v0
	v_mov_b64_e32 v[12:13], 0
	s_delay_alu instid0(VALU_DEP_2)
	v_ashrrev_i32_e32 v11, 31, v10
	s_and_saveexec_b32 s13, s1
	s_cbranch_execz .LBB36_18
; %bb.10:                               ;   in Loop: Header=BB36_9 Depth=1
	v_mov_b64_e32 v[12:13], 0
	s_delay_alu instid0(VALU_DEP_2)
	v_lshl_add_u64 v[14:15], v[10:11], 3, s[10:11]
	v_mov_b32_e32 v25, v22
	s_mov_b32 s16, 0
	v_cmp_gt_i32_e32 vcc_lo, s22, v10
	s_branch .LBB36_12
.LBB36_11:                              ;   in Loop: Header=BB36_12 Depth=2
	s_wait_xcnt 0x0
	s_or_b32 exec_lo, exec_lo, s2
	v_add_nc_u32_e32 v25, 64, v25
	s_delay_alu instid0(VALU_DEP_1) | instskip(SKIP_1) | instid1(SALU_CYCLE_1)
	v_cmp_ge_i32_e64 s2, v25, v23
	s_or_b32 s16, s2, s16
	s_and_not1_b32 exec_lo, exec_lo, s16
	s_cbranch_execz .LBB36_17
.LBB36_12:                              ;   Parent Loop BB36_9 Depth=1
                                        ; =>  This Loop Header: Depth=2
                                        ;       Child Loop BB36_16 Depth 3
	v_mov_b64_e32 v[16:17], 0
	v_mov_b64_e32 v[18:19], 0
	v_dual_mov_b32 v27, 0 :: v_dual_add_nc_u32 v26, v25, v0
	s_mov_b32 s18, exec_lo
	s_delay_alu instid0(VALU_DEP_1)
	v_cmpx_lt_i32_e64 v26, v23
	s_cbranch_execz .LBB36_14
; %bb.13:                               ;   in Loop: Header=BB36_12 Depth=2
	v_lshlrev_b32_e32 v16, 2, v26
	global_load_b32 v26, v26, s[6:7] scale_offset
	v_or_b32_e32 v27, v16, v21
	v_or_b32_e32 v28, v16, v24
	s_clause 0x1
	global_load_b64 v[16:17], v27, s[8:9] scale_offset
	global_load_b64 v[18:19], v28, s[8:9] scale_offset
	s_wait_loadcnt 0x2
	s_wait_xcnt 0x2
	v_subrev_nc_u32_e32 v26, s17, v26
	s_wait_xcnt 0x1
	s_delay_alu instid0(VALU_DEP_1)
	v_lshlrev_b32_e32 v27, 1, v26
.LBB36_14:                              ;   in Loop: Header=BB36_12 Depth=2
	s_wait_xcnt 0x0
	s_or_b32 exec_lo, exec_lo, s18
	ds_store_b32 v1, v27
	s_wait_loadcnt 0x0
	ds_store_2addr_b64 v20, v[16:17], v[18:19] offset1:1
	s_wait_dscnt 0x0
	s_barrier_signal -1
	s_barrier_wait -1
	s_and_saveexec_b32 s2, vcc_lo
	s_cbranch_execz .LBB36_11
; %bb.15:                               ;   in Loop: Header=BB36_12 Depth=2
	v_mov_b32_e32 v16, 0
	s_mov_b32 s18, 0
.LBB36_16:                              ;   Parent Loop BB36_9 Depth=1
                                        ;     Parent Loop BB36_12 Depth=2
                                        ; =>    This Inner Loop Header: Depth=3
	s_delay_alu instid0(SALU_CYCLE_1) | instskip(SKIP_1) | instid1(SALU_CYCLE_1)
	v_add_nc_u32_e64 v17, 0x600, s18
	s_add_co_i32 s18, s18, 8
	s_cmp_lg_u32 s18, 0x100
	s_wait_xcnt 0x0
	ds_load_b64 v[18:19], v17
	s_wait_dscnt 0x0
	v_dual_mov_b32 v26, v18 :: v_dual_ashrrev_i32 v27, 31, v18
	v_dual_add_nc_u32 v28, 1, v18 :: v_dual_add_nc_u32 v18, 1, v19
	s_wait_kmcnt 0x0
	s_delay_alu instid0(VALU_DEP_2) | instskip(NEXT) | instid1(VALU_DEP_2)
	v_mul_u64_e32 v[26:27], s[4:5], v[26:27]
	v_ashrrev_i32_e32 v29, 31, v28
	s_delay_alu instid0(VALU_DEP_1) | instskip(NEXT) | instid1(VALU_DEP_3)
	v_mul_u64_e32 v[28:29], s[4:5], v[28:29]
	v_lshl_add_u64 v[26:27], v[26:27], 3, v[14:15]
	global_load_b64 v[34:35], v[26:27], off
	v_lshl_add_u64 v[28:29], v[28:29], 3, v[14:15]
	global_load_b64 v[36:37], v[28:29], off
	s_wait_xcnt 0x1
	v_dual_mov_b32 v26, v19 :: v_dual_ashrrev_i32 v27, 31, v19
	v_ashrrev_i32_e32 v19, 31, v18
	s_delay_alu instid0(VALU_DEP_2) | instskip(NEXT) | instid1(VALU_DEP_2)
	v_mul_u64_e32 v[26:27], s[4:5], v[26:27]
	v_mul_u64_e32 v[18:19], s[4:5], v[18:19]
	s_delay_alu instid0(VALU_DEP_2) | instskip(NEXT) | instid1(VALU_DEP_2)
	v_lshl_add_u64 v[26:27], v[26:27], 3, v[14:15]
	v_lshl_add_u64 v[18:19], v[18:19], 3, v[14:15]
	s_clause 0x1
	global_load_b64 v[38:39], v[26:27], off
	global_load_b64 v[18:19], v[18:19], off
	s_wait_xcnt 0x1
	ds_load_b128 v[26:29], v16
	ds_load_2addr_b64 v[30:33], v16 offset0:3 offset1:4
	v_add_nc_u32_e32 v16, 48, v16
	s_wait_loadcnt_dscnt 0x301
	v_fmac_f64_e32 v[12:13], v[26:27], v[34:35]
	s_wait_loadcnt 0x2
	s_delay_alu instid0(VALU_DEP_1) | instskip(SKIP_1) | instid1(VALU_DEP_1)
	v_fmac_f64_e32 v[12:13], v[28:29], v[36:37]
	s_wait_loadcnt_dscnt 0x100
	v_fmac_f64_e32 v[12:13], v[30:31], v[38:39]
	s_wait_loadcnt 0x0
	s_delay_alu instid0(VALU_DEP_1)
	v_fmac_f64_e32 v[12:13], v[32:33], v[18:19]
	s_cbranch_scc1 .LBB36_16
	s_branch .LBB36_11
.LBB36_17:                              ;   in Loop: Header=BB36_9 Depth=1
	s_or_b32 exec_lo, exec_lo, s16
.LBB36_18:                              ;   in Loop: Header=BB36_9 Depth=1
	s_delay_alu instid0(SALU_CYCLE_1) | instskip(NEXT) | instid1(SALU_CYCLE_1)
	s_or_b32 exec_lo, exec_lo, s13
	s_mov_b32 s2, exec_lo
	v_cmpx_gt_i32_e64 s22, v10
	s_cbranch_execz .LBB36_8
; %bb.19:                               ;   in Loop: Header=BB36_9 Depth=1
	s_and_saveexec_b32 s13, s0
	s_delay_alu instid0(SALU_CYCLE_1)
	s_xor_b32 s13, exec_lo, s13
	s_cbranch_execz .LBB36_24
; %bb.20:                               ;   in Loop: Header=BB36_9 Depth=1
	s_and_b32 vcc_lo, exec_lo, s12
	s_mov_b32 s16, -1
	s_cbranch_vccz .LBB36_22
; %bb.21:                               ;   in Loop: Header=BB36_9 Depth=1
	v_lshl_add_u64 v[14:15], v[10:11], 3, v[8:9]
	v_mul_f64_e32 v[18:19], v[2:3], v[12:13]
	s_mov_b32 s16, 0
	global_load_b64 v[16:17], v[14:15], off
	s_wait_loadcnt 0x0
	v_fmac_f64_e32 v[18:19], v[4:5], v[16:17]
	global_store_b64 v[14:15], v[18:19], off
.LBB36_22:                              ;   in Loop: Header=BB36_9 Depth=1
	s_and_not1_b32 vcc_lo, exec_lo, s16
	s_cbranch_vccnz .LBB36_24
; %bb.23:                               ;   in Loop: Header=BB36_9 Depth=1
	v_mul_u64_e32 v[10:11], s[14:15], v[10:11]
	v_mul_f64_e32 v[12:13], v[2:3], v[12:13]
	s_delay_alu instid0(VALU_DEP_2)
	v_lshl_add_u64 v[10:11], v[10:11], 3, v[6:7]
	global_load_b64 v[14:15], v[10:11], off
	s_wait_loadcnt 0x0
	v_fmac_f64_e32 v[12:13], v[4:5], v[14:15]
	global_store_b64 v[10:11], v[12:13], off
                                        ; implicit-def: $vgpr12_vgpr13
                                        ; implicit-def: $vgpr10
.LBB36_24:                              ;   in Loop: Header=BB36_9 Depth=1
	s_wait_xcnt 0x0
	s_and_not1_saveexec_b32 s13, s13
	s_cbranch_execz .LBB36_8
; %bb.25:                               ;   in Loop: Header=BB36_9 Depth=1
	v_mul_f64_e32 v[12:13], v[2:3], v[12:13]
	s_and_b32 vcc_lo, exec_lo, s12
	s_mov_b32 s13, -1
	s_cbranch_vccz .LBB36_27
; %bb.26:                               ;   in Loop: Header=BB36_9 Depth=1
	v_lshl_add_u64 v[14:15], v[10:11], 3, v[8:9]
	s_mov_b32 s13, 0
	global_store_b64 v[14:15], v[12:13], off
.LBB36_27:                              ;   in Loop: Header=BB36_9 Depth=1
	s_and_not1_b32 vcc_lo, exec_lo, s13
	s_cbranch_vccnz .LBB36_8
; %bb.28:                               ;   in Loop: Header=BB36_9 Depth=1
	v_mul_u64_e32 v[10:11], s[14:15], v[10:11]
	s_delay_alu instid0(VALU_DEP_1)
	v_lshl_add_u64 v[10:11], v[10:11], 3, v[6:7]
	global_store_b64 v[10:11], v[12:13], off
	s_branch .LBB36_8
.LBB36_29:
	s_endpgm
	.section	.rodata,"a",@progbits
	.p2align	6, 0x0
	.amdhsa_kernel _ZN9rocsparseL29bsrmmnt_small_blockdim_kernelILj64ELj64ELj2EiiddddEEv20rocsparse_direction_T3_S2_llNS_24const_host_device_scalarIT7_EEPKT2_PKS2_PKT4_PKT5_llS5_PT6_ll16rocsparse_order_21rocsparse_index_base_b
		.amdhsa_group_segment_fixed_size 1792
		.amdhsa_private_segment_fixed_size 0
		.amdhsa_kernarg_size 392
		.amdhsa_user_sgpr_count 2
		.amdhsa_user_sgpr_dispatch_ptr 0
		.amdhsa_user_sgpr_queue_ptr 0
		.amdhsa_user_sgpr_kernarg_segment_ptr 1
		.amdhsa_user_sgpr_dispatch_id 0
		.amdhsa_user_sgpr_kernarg_preload_length 0
		.amdhsa_user_sgpr_kernarg_preload_offset 0
		.amdhsa_user_sgpr_private_segment_size 0
		.amdhsa_wavefront_size32 1
		.amdhsa_uses_dynamic_stack 0
		.amdhsa_enable_private_segment 0
		.amdhsa_system_sgpr_workgroup_id_x 1
		.amdhsa_system_sgpr_workgroup_id_y 0
		.amdhsa_system_sgpr_workgroup_id_z 0
		.amdhsa_system_sgpr_workgroup_info 0
		.amdhsa_system_vgpr_workitem_id 0
		.amdhsa_next_free_vgpr 40
		.amdhsa_next_free_sgpr 23
		.amdhsa_named_barrier_count 0
		.amdhsa_reserve_vcc 1
		.amdhsa_float_round_mode_32 0
		.amdhsa_float_round_mode_16_64 0
		.amdhsa_float_denorm_mode_32 3
		.amdhsa_float_denorm_mode_16_64 3
		.amdhsa_fp16_overflow 0
		.amdhsa_memory_ordered 1
		.amdhsa_forward_progress 1
		.amdhsa_inst_pref_size 10
		.amdhsa_round_robin_scheduling 0
		.amdhsa_exception_fp_ieee_invalid_op 0
		.amdhsa_exception_fp_denorm_src 0
		.amdhsa_exception_fp_ieee_div_zero 0
		.amdhsa_exception_fp_ieee_overflow 0
		.amdhsa_exception_fp_ieee_underflow 0
		.amdhsa_exception_fp_ieee_inexact 0
		.amdhsa_exception_int_div_zero 0
	.end_amdhsa_kernel
	.section	.text._ZN9rocsparseL29bsrmmnt_small_blockdim_kernelILj64ELj64ELj2EiiddddEEv20rocsparse_direction_T3_S2_llNS_24const_host_device_scalarIT7_EEPKT2_PKS2_PKT4_PKT5_llS5_PT6_ll16rocsparse_order_21rocsparse_index_base_b,"axG",@progbits,_ZN9rocsparseL29bsrmmnt_small_blockdim_kernelILj64ELj64ELj2EiiddddEEv20rocsparse_direction_T3_S2_llNS_24const_host_device_scalarIT7_EEPKT2_PKS2_PKT4_PKT5_llS5_PT6_ll16rocsparse_order_21rocsparse_index_base_b,comdat
.Lfunc_end36:
	.size	_ZN9rocsparseL29bsrmmnt_small_blockdim_kernelILj64ELj64ELj2EiiddddEEv20rocsparse_direction_T3_S2_llNS_24const_host_device_scalarIT7_EEPKT2_PKS2_PKT4_PKT5_llS5_PT6_ll16rocsparse_order_21rocsparse_index_base_b, .Lfunc_end36-_ZN9rocsparseL29bsrmmnt_small_blockdim_kernelILj64ELj64ELj2EiiddddEEv20rocsparse_direction_T3_S2_llNS_24const_host_device_scalarIT7_EEPKT2_PKS2_PKT4_PKT5_llS5_PT6_ll16rocsparse_order_21rocsparse_index_base_b
                                        ; -- End function
	.set _ZN9rocsparseL29bsrmmnt_small_blockdim_kernelILj64ELj64ELj2EiiddddEEv20rocsparse_direction_T3_S2_llNS_24const_host_device_scalarIT7_EEPKT2_PKS2_PKT4_PKT5_llS5_PT6_ll16rocsparse_order_21rocsparse_index_base_b.num_vgpr, 40
	.set _ZN9rocsparseL29bsrmmnt_small_blockdim_kernelILj64ELj64ELj2EiiddddEEv20rocsparse_direction_T3_S2_llNS_24const_host_device_scalarIT7_EEPKT2_PKS2_PKT4_PKT5_llS5_PT6_ll16rocsparse_order_21rocsparse_index_base_b.num_agpr, 0
	.set _ZN9rocsparseL29bsrmmnt_small_blockdim_kernelILj64ELj64ELj2EiiddddEEv20rocsparse_direction_T3_S2_llNS_24const_host_device_scalarIT7_EEPKT2_PKS2_PKT4_PKT5_llS5_PT6_ll16rocsparse_order_21rocsparse_index_base_b.numbered_sgpr, 23
	.set _ZN9rocsparseL29bsrmmnt_small_blockdim_kernelILj64ELj64ELj2EiiddddEEv20rocsparse_direction_T3_S2_llNS_24const_host_device_scalarIT7_EEPKT2_PKS2_PKT4_PKT5_llS5_PT6_ll16rocsparse_order_21rocsparse_index_base_b.num_named_barrier, 0
	.set _ZN9rocsparseL29bsrmmnt_small_blockdim_kernelILj64ELj64ELj2EiiddddEEv20rocsparse_direction_T3_S2_llNS_24const_host_device_scalarIT7_EEPKT2_PKS2_PKT4_PKT5_llS5_PT6_ll16rocsparse_order_21rocsparse_index_base_b.private_seg_size, 0
	.set _ZN9rocsparseL29bsrmmnt_small_blockdim_kernelILj64ELj64ELj2EiiddddEEv20rocsparse_direction_T3_S2_llNS_24const_host_device_scalarIT7_EEPKT2_PKS2_PKT4_PKT5_llS5_PT6_ll16rocsparse_order_21rocsparse_index_base_b.uses_vcc, 1
	.set _ZN9rocsparseL29bsrmmnt_small_blockdim_kernelILj64ELj64ELj2EiiddddEEv20rocsparse_direction_T3_S2_llNS_24const_host_device_scalarIT7_EEPKT2_PKS2_PKT4_PKT5_llS5_PT6_ll16rocsparse_order_21rocsparse_index_base_b.uses_flat_scratch, 0
	.set _ZN9rocsparseL29bsrmmnt_small_blockdim_kernelILj64ELj64ELj2EiiddddEEv20rocsparse_direction_T3_S2_llNS_24const_host_device_scalarIT7_EEPKT2_PKS2_PKT4_PKT5_llS5_PT6_ll16rocsparse_order_21rocsparse_index_base_b.has_dyn_sized_stack, 0
	.set _ZN9rocsparseL29bsrmmnt_small_blockdim_kernelILj64ELj64ELj2EiiddddEEv20rocsparse_direction_T3_S2_llNS_24const_host_device_scalarIT7_EEPKT2_PKS2_PKT4_PKT5_llS5_PT6_ll16rocsparse_order_21rocsparse_index_base_b.has_recursion, 0
	.set _ZN9rocsparseL29bsrmmnt_small_blockdim_kernelILj64ELj64ELj2EiiddddEEv20rocsparse_direction_T3_S2_llNS_24const_host_device_scalarIT7_EEPKT2_PKS2_PKT4_PKT5_llS5_PT6_ll16rocsparse_order_21rocsparse_index_base_b.has_indirect_call, 0
	.section	.AMDGPU.csdata,"",@progbits
; Kernel info:
; codeLenInByte = 1260
; TotalNumSgprs: 25
; NumVgprs: 40
; ScratchSize: 0
; MemoryBound: 0
; FloatMode: 240
; IeeeMode: 1
; LDSByteSize: 1792 bytes/workgroup (compile time only)
; SGPRBlocks: 0
; VGPRBlocks: 2
; NumSGPRsForWavesPerEU: 25
; NumVGPRsForWavesPerEU: 40
; NamedBarCnt: 0
; Occupancy: 16
; WaveLimiterHint : 1
; COMPUTE_PGM_RSRC2:SCRATCH_EN: 0
; COMPUTE_PGM_RSRC2:USER_SGPR: 2
; COMPUTE_PGM_RSRC2:TRAP_HANDLER: 0
; COMPUTE_PGM_RSRC2:TGID_X_EN: 1
; COMPUTE_PGM_RSRC2:TGID_Y_EN: 0
; COMPUTE_PGM_RSRC2:TGID_Z_EN: 0
; COMPUTE_PGM_RSRC2:TIDIG_COMP_CNT: 0
	.section	.text._ZN9rocsparseL29bsrmmnt_small_blockdim_kernelILj64ELj8ELj2EliddddEEv20rocsparse_direction_T3_S2_llNS_24const_host_device_scalarIT7_EEPKT2_PKS2_PKT4_PKT5_llS5_PT6_ll16rocsparse_order_21rocsparse_index_base_b,"axG",@progbits,_ZN9rocsparseL29bsrmmnt_small_blockdim_kernelILj64ELj8ELj2EliddddEEv20rocsparse_direction_T3_S2_llNS_24const_host_device_scalarIT7_EEPKT2_PKS2_PKT4_PKT5_llS5_PT6_ll16rocsparse_order_21rocsparse_index_base_b,comdat
	.globl	_ZN9rocsparseL29bsrmmnt_small_blockdim_kernelILj64ELj8ELj2EliddddEEv20rocsparse_direction_T3_S2_llNS_24const_host_device_scalarIT7_EEPKT2_PKS2_PKT4_PKT5_llS5_PT6_ll16rocsparse_order_21rocsparse_index_base_b ; -- Begin function _ZN9rocsparseL29bsrmmnt_small_blockdim_kernelILj64ELj8ELj2EliddddEEv20rocsparse_direction_T3_S2_llNS_24const_host_device_scalarIT7_EEPKT2_PKS2_PKT4_PKT5_llS5_PT6_ll16rocsparse_order_21rocsparse_index_base_b
	.p2align	8
	.type	_ZN9rocsparseL29bsrmmnt_small_blockdim_kernelILj64ELj8ELj2EliddddEEv20rocsparse_direction_T3_S2_llNS_24const_host_device_scalarIT7_EEPKT2_PKS2_PKT4_PKT5_llS5_PT6_ll16rocsparse_order_21rocsparse_index_base_b,@function
_ZN9rocsparseL29bsrmmnt_small_blockdim_kernelILj64ELj8ELj2EliddddEEv20rocsparse_direction_T3_S2_llNS_24const_host_device_scalarIT7_EEPKT2_PKS2_PKT4_PKT5_llS5_PT6_ll16rocsparse_order_21rocsparse_index_base_b: ; @_ZN9rocsparseL29bsrmmnt_small_blockdim_kernelILj64ELj8ELj2EliddddEEv20rocsparse_direction_T3_S2_llNS_24const_host_device_scalarIT7_EEPKT2_PKS2_PKT4_PKT5_llS5_PT6_ll16rocsparse_order_21rocsparse_index_base_b
; %bb.0:
	s_clause 0x2
	s_load_b96 s[16:18], s[0:1], 0x78
	s_load_b64 s[4:5], s[0:1], 0x20
	s_load_b64 s[2:3], s[0:1], 0x58
	s_wait_kmcnt 0x0
	s_bitcmp1_b32 s18, 0
	v_mov_b64_e32 v[2:3], s[4:5]
	s_cselect_b32 s6, -1, 0
	s_delay_alu instid0(SALU_CYCLE_1)
	s_and_b32 vcc_lo, exec_lo, s6
	s_xor_b32 s6, s6, -1
	s_cbranch_vccnz .LBB37_2
; %bb.1:
	v_mov_b32_e32 v1, 0
	flat_load_b64 v[2:3], v1, s[4:5]
.LBB37_2:
	v_mov_b64_e32 v[4:5], s[2:3]
	s_and_not1_b32 vcc_lo, exec_lo, s6
	s_cbranch_vccnz .LBB37_4
; %bb.3:
	s_wait_xcnt 0x0
	v_mov_b32_e32 v1, 0
	flat_load_b64 v[4:5], v1, s[2:3]
.LBB37_4:
	s_wait_loadcnt_dscnt 0x0
	v_cmp_neq_f64_e32 vcc_lo, 0, v[2:3]
	s_delay_alu instid0(VALU_DEP_2) | instskip(SKIP_1) | instid1(SALU_CYCLE_1)
	v_cmp_neq_f64_e64 s2, 1.0, v[4:5]
	s_or_b32 s2, vcc_lo, s2
	s_and_saveexec_b32 s3, s2
	s_cbranch_execz .LBB37_29
; %bb.5:
	s_clause 0x1
	s_load_b32 s2, s[0:1], 0x94
	s_load_b96 s[20:22], s[0:1], 0x0
	s_bfe_u32 s3, ttmp6, 0x4000c
	s_and_b32 s4, ttmp6, 15
	s_add_co_i32 s3, s3, 1
	s_getreg_b32 s5, hwreg(HW_REG_IB_STS2, 6, 4)
	s_mul_i32 s3, ttmp9, s3
	s_delay_alu instid0(SALU_CYCLE_1) | instskip(SKIP_4) | instid1(SALU_CYCLE_1)
	s_add_co_i32 s4, s4, s3
	s_wait_kmcnt 0x0
	s_and_b32 s2, s2, 0xffff
	s_cmp_eq_u32 s5, 0
	s_cselect_b32 s3, ttmp9, s4
	v_mad_u32 v6, s3, s2, v0
	s_delay_alu instid0(VALU_DEP_1) | instskip(NEXT) | instid1(VALU_DEP_1)
	v_lshrrev_b32_e32 v1, 4, v6
	v_cmp_gt_i32_e32 vcc_lo, s21, v1
	s_and_b32 exec_lo, exec_lo, vcc_lo
	s_cbranch_execz .LBB37_29
; %bb.6:
	s_cmp_lt_i32 s22, 1
	s_cbranch_scc1 .LBB37_29
; %bb.7:
	s_load_b256 s[4:11], s[0:1], 0x28
	v_dual_lshlrev_b32 v1, 3, v1 :: v_dual_lshrrev_b32 v8, 3, v6
	s_load_b128 s[12:15], s[0:1], 0x60
	s_cmp_lg_u32 s16, 1
	v_bfe_u32 v7, v6, 3, 1
	s_cselect_b32 s3, -1, 0
	s_cmp_eq_u32 s20, 0
	s_mov_b32 s19, 0
	s_cselect_b32 s2, -1, 0
	s_mov_b32 s18, s17
	s_wait_kmcnt 0x0
	global_load_b128 v[12:15], v1, s[4:5]
	s_wait_xcnt 0x0
	v_mov_b32_e32 v1, 0
	s_load_b64 s[4:5], s[0:1], 0x48
	s_wait_xcnt 0x0
	v_cmp_neq_f64_e64 s0, 0, v[4:5]
	s_delay_alu instid0(VALU_DEP_2) | instskip(NEXT) | instid1(VALU_DEP_1)
	v_mov_b32_e32 v9, v1
	v_mul_u64_e32 v[16:17], s[14:15], v[8:9]
	v_lshrrev_b32_e32 v8, 3, v0
	v_cndmask_b32_e64 v9, 0, 1, s2
	v_and_b32_e32 v6, -8, v6
	v_dual_mov_b32 v19, v1 :: v_dual_bitop2_b32 v0, 7, v0 bitop3:0x40
	s_delay_alu instid0(VALU_DEP_4)
	v_lshl_or_b32 v30, v8, 5, 0x600
	v_mul_u32_u24_e32 v31, 0xc0, v8
	v_lshlrev_b32_e32 v8, v9, v7
	v_mov_b32_e32 v7, v1
	v_mul_u32_u24_e32 v20, 24, v0
	v_lshl_or_b32 v32, v0, 2, v30
	s_and_b32 s2, s2, exec_lo
	v_lshlrev_b32_e32 v18, 3, v8
	v_add_nc_u64_e32 v[6:7], s[12:13], v[6:7]
	v_add_nc_u32_e32 v33, v31, v20
	s_wait_loadcnt 0x0
	v_sub_nc_u64_e64 v[8:9], v[12:13], s[18:19]
	v_sub_nc_u64_e64 v[10:11], v[14:15], s[18:19]
	v_cmp_lt_i64_e64 s1, v[12:13], v[14:15]
	v_add_nc_u64_e32 v[12:13], s[8:9], v[18:19]
	v_lshl_add_u64 v[14:15], v[16:17], 3, s[12:13]
	s_cselect_b32 s18, 8, 16
	s_mov_b32 s8, s19
	s_branch .LBB37_9
.LBB37_8:                               ;   in Loop: Header=BB37_9 Depth=1
	s_wait_xcnt 0x0
	s_or_b32 exec_lo, exec_lo, s2
	s_add_co_i32 s8, s8, 8
	s_delay_alu instid0(SALU_CYCLE_1)
	s_cmp_lt_i32 s8, s22
	s_cbranch_scc0 .LBB37_29
.LBB37_9:                               ; =>This Loop Header: Depth=1
                                        ;     Child Loop BB37_12 Depth 2
                                        ;       Child Loop BB37_16 Depth 3
	v_or_b32_e32 v16, s8, v0
	v_mov_b64_e32 v[18:19], 0
	s_delay_alu instid0(VALU_DEP_2)
	v_ashrrev_i32_e32 v17, 31, v16
	s_and_saveexec_b32 s9, s1
	s_cbranch_execz .LBB37_18
; %bb.10:                               ;   in Loop: Header=BB37_9 Depth=1
	v_mov_b64_e32 v[18:19], 0
	v_mov_b64_e32 v[22:23], v[8:9]
	v_lshl_add_u64 v[20:21], v[16:17], 3, s[10:11]
	s_mov_b32 s12, 0
	v_cmp_gt_i32_e32 vcc_lo, s22, v16
	s_branch .LBB37_12
.LBB37_11:                              ;   in Loop: Header=BB37_12 Depth=2
	s_or_b32 exec_lo, exec_lo, s2
	v_add_nc_u64_e32 v[22:23], 8, v[22:23]
	s_delay_alu instid0(VALU_DEP_1) | instskip(SKIP_1) | instid1(SALU_CYCLE_1)
	v_cmp_ge_i64_e64 s2, v[22:23], v[10:11]
	s_or_b32 s12, s2, s12
	s_and_not1_b32 exec_lo, exec_lo, s12
	s_cbranch_execz .LBB37_17
.LBB37_12:                              ;   Parent Loop BB37_9 Depth=1
                                        ; =>  This Loop Header: Depth=2
                                        ;       Child Loop BB37_16 Depth 3
	s_delay_alu instid0(VALU_DEP_3) | instskip(SKIP_4) | instid1(VALU_DEP_4)
	v_add_nc_u64_e32 v[28:29], v[22:23], v[0:1]
	v_mov_b64_e32 v[24:25], 0
	v_mov_b64_e32 v[26:27], 0
	v_mov_b32_e32 v34, 0
	s_mov_b32 s13, exec_lo
	v_cmpx_lt_i64_e64 v[28:29], v[10:11]
	s_cbranch_execz .LBB37_14
; %bb.13:                               ;   in Loop: Header=BB37_12 Depth=2
	v_lshlrev_b64_e32 v[24:25], 5, v[28:29]
	v_lshl_add_u64 v[26:27], v[28:29], 2, s[6:7]
	global_load_b32 v36, v[26:27], off
	v_add_nc_u64_e32 v[28:29], v[12:13], v[24:25]
	s_delay_alu instid0(VALU_DEP_1)
	v_add_nc_u64_e32 v[34:35], s[18:19], v[28:29]
	s_clause 0x1
	global_load_b64 v[24:25], v[28:29], off
	global_load_b64 v[26:27], v[34:35], off
	s_wait_loadcnt 0x2
	s_wait_xcnt 0x1
	v_subrev_nc_u32_e32 v28, s17, v36
	s_wait_xcnt 0x0
	s_delay_alu instid0(VALU_DEP_1)
	v_lshlrev_b32_e32 v34, 1, v28
.LBB37_14:                              ;   in Loop: Header=BB37_12 Depth=2
	s_or_b32 exec_lo, exec_lo, s13
	ds_store_b32 v32, v34
	s_wait_loadcnt 0x0
	ds_store_2addr_b64 v33, v[24:25], v[26:27] offset1:1
	s_wait_dscnt 0x0
	s_barrier_signal -1
	s_barrier_wait -1
	s_and_saveexec_b32 s2, vcc_lo
	s_cbranch_execz .LBB37_11
; %bb.15:                               ;   in Loop: Header=BB37_12 Depth=2
	v_mov_b32_e32 v24, v31
	s_mov_b32 s13, 0
.LBB37_16:                              ;   Parent Loop BB37_9 Depth=1
                                        ;     Parent Loop BB37_12 Depth=2
                                        ; =>    This Inner Loop Header: Depth=3
	s_delay_alu instid0(SALU_CYCLE_1) | instskip(SKIP_1) | instid1(SALU_CYCLE_1)
	v_add_nc_u32_e32 v25, s13, v30
	s_add_co_i32 s13, s13, 8
	s_cmp_lg_u32 s13, 32
	ds_load_b64 v[26:27], v25
	s_wait_dscnt 0x0
	v_dual_ashrrev_i32 v29, 31, v26 :: v_dual_add_nc_u32 v34, 1, v26
	v_dual_mov_b32 v28, v26 :: v_dual_add_nc_u32 v26, 1, v27
	s_delay_alu instid0(VALU_DEP_2) | instskip(SKIP_1) | instid1(VALU_DEP_2)
	v_ashrrev_i32_e32 v35, 31, v34
	s_wait_kmcnt 0x0
	v_mul_u64_e32 v[28:29], s[4:5], v[28:29]
	s_delay_alu instid0(VALU_DEP_2) | instskip(NEXT) | instid1(VALU_DEP_2)
	v_mul_u64_e32 v[34:35], s[4:5], v[34:35]
	v_lshl_add_u64 v[28:29], v[28:29], 3, v[20:21]
	s_delay_alu instid0(VALU_DEP_2)
	v_lshl_add_u64 v[34:35], v[34:35], 3, v[20:21]
	s_clause 0x1
	global_load_b64 v[38:39], v[28:29], off
	global_load_b64 v[40:41], v[34:35], off
	s_wait_xcnt 0x1
	v_dual_mov_b32 v28, v27 :: v_dual_ashrrev_i32 v29, 31, v27
	v_ashrrev_i32_e32 v27, 31, v26
	s_delay_alu instid0(VALU_DEP_2) | instskip(NEXT) | instid1(VALU_DEP_2)
	v_mul_u64_e32 v[28:29], s[4:5], v[28:29]
	v_mul_u64_e32 v[26:27], s[4:5], v[26:27]
	s_delay_alu instid0(VALU_DEP_2) | instskip(NEXT) | instid1(VALU_DEP_2)
	v_lshl_add_u64 v[28:29], v[28:29], 3, v[20:21]
	v_lshl_add_u64 v[26:27], v[26:27], 3, v[20:21]
	s_clause 0x1
	global_load_b64 v[42:43], v[28:29], off
	global_load_b64 v[44:45], v[26:27], off
	s_wait_xcnt 0x0
	ds_load_b128 v[26:29], v24
	ds_load_2addr_b64 v[34:37], v24 offset0:3 offset1:4
	v_add_nc_u32_e32 v24, 48, v24
	s_wait_loadcnt_dscnt 0x301
	v_fmac_f64_e32 v[18:19], v[26:27], v[38:39]
	s_wait_loadcnt 0x2
	s_delay_alu instid0(VALU_DEP_1) | instskip(SKIP_1) | instid1(VALU_DEP_1)
	v_fmac_f64_e32 v[18:19], v[28:29], v[40:41]
	s_wait_loadcnt_dscnt 0x100
	v_fmac_f64_e32 v[18:19], v[34:35], v[42:43]
	s_wait_loadcnt 0x0
	s_delay_alu instid0(VALU_DEP_1)
	v_fmac_f64_e32 v[18:19], v[36:37], v[44:45]
	s_cbranch_scc1 .LBB37_16
	s_branch .LBB37_11
.LBB37_17:                              ;   in Loop: Header=BB37_9 Depth=1
	s_or_b32 exec_lo, exec_lo, s12
.LBB37_18:                              ;   in Loop: Header=BB37_9 Depth=1
	s_delay_alu instid0(SALU_CYCLE_1) | instskip(NEXT) | instid1(SALU_CYCLE_1)
	s_or_b32 exec_lo, exec_lo, s9
	s_mov_b32 s2, exec_lo
	v_cmpx_gt_i32_e64 s22, v16
	s_cbranch_execz .LBB37_8
; %bb.19:                               ;   in Loop: Header=BB37_9 Depth=1
	s_and_saveexec_b32 s9, s0
	s_delay_alu instid0(SALU_CYCLE_1)
	s_xor_b32 s9, exec_lo, s9
	s_cbranch_execz .LBB37_24
; %bb.20:                               ;   in Loop: Header=BB37_9 Depth=1
	s_and_b32 vcc_lo, exec_lo, s3
	s_mov_b32 s12, -1
	s_cbranch_vccz .LBB37_22
; %bb.21:                               ;   in Loop: Header=BB37_9 Depth=1
	v_lshl_add_u64 v[20:21], v[16:17], 3, v[14:15]
	v_mul_f64_e32 v[24:25], v[2:3], v[18:19]
	s_mov_b32 s12, 0
	global_load_b64 v[22:23], v[20:21], off
	s_wait_loadcnt 0x0
	v_fmac_f64_e32 v[24:25], v[4:5], v[22:23]
	global_store_b64 v[20:21], v[24:25], off
.LBB37_22:                              ;   in Loop: Header=BB37_9 Depth=1
	s_and_not1_b32 vcc_lo, exec_lo, s12
	s_cbranch_vccnz .LBB37_24
; %bb.23:                               ;   in Loop: Header=BB37_9 Depth=1
	v_mul_u64_e32 v[16:17], s[14:15], v[16:17]
	v_mul_f64_e32 v[18:19], v[2:3], v[18:19]
	s_delay_alu instid0(VALU_DEP_2)
	v_lshl_add_u64 v[16:17], v[16:17], 3, v[6:7]
	global_load_b64 v[20:21], v[16:17], off
	s_wait_loadcnt 0x0
	v_fmac_f64_e32 v[18:19], v[4:5], v[20:21]
	global_store_b64 v[16:17], v[18:19], off
                                        ; implicit-def: $vgpr18_vgpr19
                                        ; implicit-def: $vgpr16
.LBB37_24:                              ;   in Loop: Header=BB37_9 Depth=1
	s_wait_xcnt 0x0
	s_and_not1_saveexec_b32 s9, s9
	s_cbranch_execz .LBB37_8
; %bb.25:                               ;   in Loop: Header=BB37_9 Depth=1
	v_mul_f64_e32 v[18:19], v[2:3], v[18:19]
	s_and_b32 vcc_lo, exec_lo, s3
	s_mov_b32 s9, -1
	s_cbranch_vccz .LBB37_27
; %bb.26:                               ;   in Loop: Header=BB37_9 Depth=1
	v_lshl_add_u64 v[20:21], v[16:17], 3, v[14:15]
	s_mov_b32 s9, 0
	global_store_b64 v[20:21], v[18:19], off
.LBB37_27:                              ;   in Loop: Header=BB37_9 Depth=1
	s_and_not1_b32 vcc_lo, exec_lo, s9
	s_cbranch_vccnz .LBB37_8
; %bb.28:                               ;   in Loop: Header=BB37_9 Depth=1
	v_mul_u64_e32 v[16:17], s[14:15], v[16:17]
	s_delay_alu instid0(VALU_DEP_1)
	v_lshl_add_u64 v[16:17], v[16:17], 3, v[6:7]
	global_store_b64 v[16:17], v[18:19], off
	s_branch .LBB37_8
.LBB37_29:
	s_endpgm
	.section	.rodata,"a",@progbits
	.p2align	6, 0x0
	.amdhsa_kernel _ZN9rocsparseL29bsrmmnt_small_blockdim_kernelILj64ELj8ELj2EliddddEEv20rocsparse_direction_T3_S2_llNS_24const_host_device_scalarIT7_EEPKT2_PKS2_PKT4_PKT5_llS5_PT6_ll16rocsparse_order_21rocsparse_index_base_b
		.amdhsa_group_segment_fixed_size 1792
		.amdhsa_private_segment_fixed_size 0
		.amdhsa_kernarg_size 392
		.amdhsa_user_sgpr_count 2
		.amdhsa_user_sgpr_dispatch_ptr 0
		.amdhsa_user_sgpr_queue_ptr 0
		.amdhsa_user_sgpr_kernarg_segment_ptr 1
		.amdhsa_user_sgpr_dispatch_id 0
		.amdhsa_user_sgpr_kernarg_preload_length 0
		.amdhsa_user_sgpr_kernarg_preload_offset 0
		.amdhsa_user_sgpr_private_segment_size 0
		.amdhsa_wavefront_size32 1
		.amdhsa_uses_dynamic_stack 0
		.amdhsa_enable_private_segment 0
		.amdhsa_system_sgpr_workgroup_id_x 1
		.amdhsa_system_sgpr_workgroup_id_y 0
		.amdhsa_system_sgpr_workgroup_id_z 0
		.amdhsa_system_sgpr_workgroup_info 0
		.amdhsa_system_vgpr_workitem_id 0
		.amdhsa_next_free_vgpr 46
		.amdhsa_next_free_sgpr 23
		.amdhsa_named_barrier_count 0
		.amdhsa_reserve_vcc 1
		.amdhsa_float_round_mode_32 0
		.amdhsa_float_round_mode_16_64 0
		.amdhsa_float_denorm_mode_32 3
		.amdhsa_float_denorm_mode_16_64 3
		.amdhsa_fp16_overflow 0
		.amdhsa_memory_ordered 1
		.amdhsa_forward_progress 1
		.amdhsa_inst_pref_size 11
		.amdhsa_round_robin_scheduling 0
		.amdhsa_exception_fp_ieee_invalid_op 0
		.amdhsa_exception_fp_denorm_src 0
		.amdhsa_exception_fp_ieee_div_zero 0
		.amdhsa_exception_fp_ieee_overflow 0
		.amdhsa_exception_fp_ieee_underflow 0
		.amdhsa_exception_fp_ieee_inexact 0
		.amdhsa_exception_int_div_zero 0
	.end_amdhsa_kernel
	.section	.text._ZN9rocsparseL29bsrmmnt_small_blockdim_kernelILj64ELj8ELj2EliddddEEv20rocsparse_direction_T3_S2_llNS_24const_host_device_scalarIT7_EEPKT2_PKS2_PKT4_PKT5_llS5_PT6_ll16rocsparse_order_21rocsparse_index_base_b,"axG",@progbits,_ZN9rocsparseL29bsrmmnt_small_blockdim_kernelILj64ELj8ELj2EliddddEEv20rocsparse_direction_T3_S2_llNS_24const_host_device_scalarIT7_EEPKT2_PKS2_PKT4_PKT5_llS5_PT6_ll16rocsparse_order_21rocsparse_index_base_b,comdat
.Lfunc_end37:
	.size	_ZN9rocsparseL29bsrmmnt_small_blockdim_kernelILj64ELj8ELj2EliddddEEv20rocsparse_direction_T3_S2_llNS_24const_host_device_scalarIT7_EEPKT2_PKS2_PKT4_PKT5_llS5_PT6_ll16rocsparse_order_21rocsparse_index_base_b, .Lfunc_end37-_ZN9rocsparseL29bsrmmnt_small_blockdim_kernelILj64ELj8ELj2EliddddEEv20rocsparse_direction_T3_S2_llNS_24const_host_device_scalarIT7_EEPKT2_PKS2_PKT4_PKT5_llS5_PT6_ll16rocsparse_order_21rocsparse_index_base_b
                                        ; -- End function
	.set _ZN9rocsparseL29bsrmmnt_small_blockdim_kernelILj64ELj8ELj2EliddddEEv20rocsparse_direction_T3_S2_llNS_24const_host_device_scalarIT7_EEPKT2_PKS2_PKT4_PKT5_llS5_PT6_ll16rocsparse_order_21rocsparse_index_base_b.num_vgpr, 46
	.set _ZN9rocsparseL29bsrmmnt_small_blockdim_kernelILj64ELj8ELj2EliddddEEv20rocsparse_direction_T3_S2_llNS_24const_host_device_scalarIT7_EEPKT2_PKS2_PKT4_PKT5_llS5_PT6_ll16rocsparse_order_21rocsparse_index_base_b.num_agpr, 0
	.set _ZN9rocsparseL29bsrmmnt_small_blockdim_kernelILj64ELj8ELj2EliddddEEv20rocsparse_direction_T3_S2_llNS_24const_host_device_scalarIT7_EEPKT2_PKS2_PKT4_PKT5_llS5_PT6_ll16rocsparse_order_21rocsparse_index_base_b.numbered_sgpr, 23
	.set _ZN9rocsparseL29bsrmmnt_small_blockdim_kernelILj64ELj8ELj2EliddddEEv20rocsparse_direction_T3_S2_llNS_24const_host_device_scalarIT7_EEPKT2_PKS2_PKT4_PKT5_llS5_PT6_ll16rocsparse_order_21rocsparse_index_base_b.num_named_barrier, 0
	.set _ZN9rocsparseL29bsrmmnt_small_blockdim_kernelILj64ELj8ELj2EliddddEEv20rocsparse_direction_T3_S2_llNS_24const_host_device_scalarIT7_EEPKT2_PKS2_PKT4_PKT5_llS5_PT6_ll16rocsparse_order_21rocsparse_index_base_b.private_seg_size, 0
	.set _ZN9rocsparseL29bsrmmnt_small_blockdim_kernelILj64ELj8ELj2EliddddEEv20rocsparse_direction_T3_S2_llNS_24const_host_device_scalarIT7_EEPKT2_PKS2_PKT4_PKT5_llS5_PT6_ll16rocsparse_order_21rocsparse_index_base_b.uses_vcc, 1
	.set _ZN9rocsparseL29bsrmmnt_small_blockdim_kernelILj64ELj8ELj2EliddddEEv20rocsparse_direction_T3_S2_llNS_24const_host_device_scalarIT7_EEPKT2_PKS2_PKT4_PKT5_llS5_PT6_ll16rocsparse_order_21rocsparse_index_base_b.uses_flat_scratch, 0
	.set _ZN9rocsparseL29bsrmmnt_small_blockdim_kernelILj64ELj8ELj2EliddddEEv20rocsparse_direction_T3_S2_llNS_24const_host_device_scalarIT7_EEPKT2_PKS2_PKT4_PKT5_llS5_PT6_ll16rocsparse_order_21rocsparse_index_base_b.has_dyn_sized_stack, 0
	.set _ZN9rocsparseL29bsrmmnt_small_blockdim_kernelILj64ELj8ELj2EliddddEEv20rocsparse_direction_T3_S2_llNS_24const_host_device_scalarIT7_EEPKT2_PKS2_PKT4_PKT5_llS5_PT6_ll16rocsparse_order_21rocsparse_index_base_b.has_recursion, 0
	.set _ZN9rocsparseL29bsrmmnt_small_blockdim_kernelILj64ELj8ELj2EliddddEEv20rocsparse_direction_T3_S2_llNS_24const_host_device_scalarIT7_EEPKT2_PKS2_PKT4_PKT5_llS5_PT6_ll16rocsparse_order_21rocsparse_index_base_b.has_indirect_call, 0
	.section	.AMDGPU.csdata,"",@progbits
; Kernel info:
; codeLenInByte = 1320
; TotalNumSgprs: 25
; NumVgprs: 46
; ScratchSize: 0
; MemoryBound: 0
; FloatMode: 240
; IeeeMode: 1
; LDSByteSize: 1792 bytes/workgroup (compile time only)
; SGPRBlocks: 0
; VGPRBlocks: 2
; NumSGPRsForWavesPerEU: 25
; NumVGPRsForWavesPerEU: 46
; NamedBarCnt: 0
; Occupancy: 16
; WaveLimiterHint : 1
; COMPUTE_PGM_RSRC2:SCRATCH_EN: 0
; COMPUTE_PGM_RSRC2:USER_SGPR: 2
; COMPUTE_PGM_RSRC2:TRAP_HANDLER: 0
; COMPUTE_PGM_RSRC2:TGID_X_EN: 1
; COMPUTE_PGM_RSRC2:TGID_Y_EN: 0
; COMPUTE_PGM_RSRC2:TGID_Z_EN: 0
; COMPUTE_PGM_RSRC2:TIDIG_COMP_CNT: 0
	.section	.text._ZN9rocsparseL29bsrmmnt_small_blockdim_kernelILj64ELj16ELj2EliddddEEv20rocsparse_direction_T3_S2_llNS_24const_host_device_scalarIT7_EEPKT2_PKS2_PKT4_PKT5_llS5_PT6_ll16rocsparse_order_21rocsparse_index_base_b,"axG",@progbits,_ZN9rocsparseL29bsrmmnt_small_blockdim_kernelILj64ELj16ELj2EliddddEEv20rocsparse_direction_T3_S2_llNS_24const_host_device_scalarIT7_EEPKT2_PKS2_PKT4_PKT5_llS5_PT6_ll16rocsparse_order_21rocsparse_index_base_b,comdat
	.globl	_ZN9rocsparseL29bsrmmnt_small_blockdim_kernelILj64ELj16ELj2EliddddEEv20rocsparse_direction_T3_S2_llNS_24const_host_device_scalarIT7_EEPKT2_PKS2_PKT4_PKT5_llS5_PT6_ll16rocsparse_order_21rocsparse_index_base_b ; -- Begin function _ZN9rocsparseL29bsrmmnt_small_blockdim_kernelILj64ELj16ELj2EliddddEEv20rocsparse_direction_T3_S2_llNS_24const_host_device_scalarIT7_EEPKT2_PKS2_PKT4_PKT5_llS5_PT6_ll16rocsparse_order_21rocsparse_index_base_b
	.p2align	8
	.type	_ZN9rocsparseL29bsrmmnt_small_blockdim_kernelILj64ELj16ELj2EliddddEEv20rocsparse_direction_T3_S2_llNS_24const_host_device_scalarIT7_EEPKT2_PKS2_PKT4_PKT5_llS5_PT6_ll16rocsparse_order_21rocsparse_index_base_b,@function
_ZN9rocsparseL29bsrmmnt_small_blockdim_kernelILj64ELj16ELj2EliddddEEv20rocsparse_direction_T3_S2_llNS_24const_host_device_scalarIT7_EEPKT2_PKS2_PKT4_PKT5_llS5_PT6_ll16rocsparse_order_21rocsparse_index_base_b: ; @_ZN9rocsparseL29bsrmmnt_small_blockdim_kernelILj64ELj16ELj2EliddddEEv20rocsparse_direction_T3_S2_llNS_24const_host_device_scalarIT7_EEPKT2_PKS2_PKT4_PKT5_llS5_PT6_ll16rocsparse_order_21rocsparse_index_base_b
; %bb.0:
	s_clause 0x2
	s_load_b96 s[16:18], s[0:1], 0x78
	s_load_b64 s[4:5], s[0:1], 0x20
	s_load_b64 s[2:3], s[0:1], 0x58
	s_wait_kmcnt 0x0
	s_bitcmp1_b32 s18, 0
	v_mov_b64_e32 v[2:3], s[4:5]
	s_cselect_b32 s6, -1, 0
	s_delay_alu instid0(SALU_CYCLE_1)
	s_and_b32 vcc_lo, exec_lo, s6
	s_xor_b32 s6, s6, -1
	s_cbranch_vccnz .LBB38_2
; %bb.1:
	v_mov_b32_e32 v1, 0
	flat_load_b64 v[2:3], v1, s[4:5]
.LBB38_2:
	v_mov_b64_e32 v[4:5], s[2:3]
	s_and_not1_b32 vcc_lo, exec_lo, s6
	s_cbranch_vccnz .LBB38_4
; %bb.3:
	s_wait_xcnt 0x0
	v_mov_b32_e32 v1, 0
	flat_load_b64 v[4:5], v1, s[2:3]
.LBB38_4:
	s_wait_loadcnt_dscnt 0x0
	v_cmp_neq_f64_e32 vcc_lo, 0, v[2:3]
	s_delay_alu instid0(VALU_DEP_2) | instskip(SKIP_1) | instid1(SALU_CYCLE_1)
	v_cmp_neq_f64_e64 s2, 1.0, v[4:5]
	s_or_b32 s2, vcc_lo, s2
	s_and_saveexec_b32 s3, s2
	s_cbranch_execz .LBB38_29
; %bb.5:
	s_clause 0x1
	s_load_b32 s2, s[0:1], 0x94
	s_load_b96 s[20:22], s[0:1], 0x0
	s_bfe_u32 s3, ttmp6, 0x4000c
	s_and_b32 s4, ttmp6, 15
	s_add_co_i32 s3, s3, 1
	s_getreg_b32 s5, hwreg(HW_REG_IB_STS2, 6, 4)
	s_mul_i32 s3, ttmp9, s3
	s_delay_alu instid0(SALU_CYCLE_1) | instskip(SKIP_4) | instid1(SALU_CYCLE_1)
	s_add_co_i32 s4, s4, s3
	s_wait_kmcnt 0x0
	s_and_b32 s2, s2, 0xffff
	s_cmp_eq_u32 s5, 0
	s_cselect_b32 s3, ttmp9, s4
	v_mad_u32 v6, s3, s2, v0
	s_delay_alu instid0(VALU_DEP_1) | instskip(NEXT) | instid1(VALU_DEP_1)
	v_lshrrev_b32_e32 v1, 5, v6
	v_cmp_gt_i32_e32 vcc_lo, s21, v1
	s_and_b32 exec_lo, exec_lo, vcc_lo
	s_cbranch_execz .LBB38_29
; %bb.6:
	s_cmp_lt_i32 s22, 1
	s_cbranch_scc1 .LBB38_29
; %bb.7:
	s_load_b256 s[4:11], s[0:1], 0x28
	v_dual_lshlrev_b32 v1, 3, v1 :: v_dual_lshrrev_b32 v8, 4, v6
	s_load_b128 s[12:15], s[0:1], 0x60
	s_cmp_lg_u32 s16, 1
	s_mov_b32 s19, 0
	s_cselect_b32 s3, -1, 0
	s_cmp_eq_u32 s20, 0
	s_mov_b32 s18, s17
	s_cselect_b32 s2, -1, 0
	v_lshrrev_b32_e32 v7, 4, v0
	v_cndmask_b32_e64 v10, 0, 1, s2
	s_and_b32 s2, s2, exec_lo
	v_and_b32_e32 v0, 15, v0
	s_delay_alu instid0(VALU_DEP_3) | instskip(SKIP_1) | instid1(VALU_DEP_3)
	v_lshl_or_b32 v30, v7, 6, 0x600
	v_mul_u32_u24_e32 v31, 0x180, v7
	v_mul_u32_u24_e32 v20, 24, v0
	s_wait_kmcnt 0x0
	global_load_b128 v[12:15], v1, s[4:5]
	s_wait_xcnt 0x0
	v_mov_b32_e32 v1, 0
	s_load_b64 s[4:5], s[0:1], 0x48
	s_wait_xcnt 0x0
	v_cmp_neq_f64_e64 s0, 0, v[4:5]
	v_lshl_or_b32 v32, v0, 2, v30
	v_dual_add_nc_u32 v33, v31, v20 :: v_dual_mov_b32 v9, v1
	v_dual_mov_b32 v7, v1 :: v_dual_mov_b32 v19, v1
	s_delay_alu instid0(VALU_DEP_2) | instskip(SKIP_1) | instid1(VALU_DEP_1)
	v_mul_u64_e32 v[16:17], s[14:15], v[8:9]
	v_bfe_u32 v9, v6, 4, 1
	v_dual_lshlrev_b32 v6, 3, v8 :: v_dual_lshlrev_b32 v8, v10, v9
	s_delay_alu instid0(VALU_DEP_1) | instskip(NEXT) | instid1(VALU_DEP_2)
	v_add_nc_u64_e32 v[6:7], s[12:13], v[6:7]
	v_lshlrev_b32_e32 v18, 3, v8
	s_wait_loadcnt 0x0
	v_sub_nc_u64_e64 v[8:9], v[12:13], s[18:19]
	v_sub_nc_u64_e64 v[10:11], v[14:15], s[18:19]
	v_cmp_lt_i64_e64 s1, v[12:13], v[14:15]
	v_add_nc_u64_e32 v[12:13], s[8:9], v[18:19]
	v_lshl_add_u64 v[14:15], v[16:17], 3, s[12:13]
	s_cselect_b32 s18, 8, 16
	s_mov_b32 s8, s19
	s_branch .LBB38_9
.LBB38_8:                               ;   in Loop: Header=BB38_9 Depth=1
	s_wait_xcnt 0x0
	s_or_b32 exec_lo, exec_lo, s2
	s_add_co_i32 s8, s8, 16
	s_delay_alu instid0(SALU_CYCLE_1)
	s_cmp_lt_i32 s8, s22
	s_cbranch_scc0 .LBB38_29
.LBB38_9:                               ; =>This Loop Header: Depth=1
                                        ;     Child Loop BB38_12 Depth 2
                                        ;       Child Loop BB38_16 Depth 3
	v_or_b32_e32 v16, s8, v0
	v_mov_b64_e32 v[18:19], 0
	s_delay_alu instid0(VALU_DEP_2)
	v_ashrrev_i32_e32 v17, 31, v16
	s_and_saveexec_b32 s9, s1
	s_cbranch_execz .LBB38_18
; %bb.10:                               ;   in Loop: Header=BB38_9 Depth=1
	v_mov_b64_e32 v[18:19], 0
	v_mov_b64_e32 v[22:23], v[8:9]
	v_lshl_add_u64 v[20:21], v[16:17], 3, s[10:11]
	s_mov_b32 s12, 0
	v_cmp_gt_i32_e32 vcc_lo, s22, v16
	s_branch .LBB38_12
.LBB38_11:                              ;   in Loop: Header=BB38_12 Depth=2
	s_or_b32 exec_lo, exec_lo, s2
	v_add_nc_u64_e32 v[22:23], 16, v[22:23]
	s_delay_alu instid0(VALU_DEP_1) | instskip(SKIP_1) | instid1(SALU_CYCLE_1)
	v_cmp_ge_i64_e64 s2, v[22:23], v[10:11]
	s_or_b32 s12, s2, s12
	s_and_not1_b32 exec_lo, exec_lo, s12
	s_cbranch_execz .LBB38_17
.LBB38_12:                              ;   Parent Loop BB38_9 Depth=1
                                        ; =>  This Loop Header: Depth=2
                                        ;       Child Loop BB38_16 Depth 3
	s_delay_alu instid0(VALU_DEP_3) | instskip(SKIP_4) | instid1(VALU_DEP_4)
	v_add_nc_u64_e32 v[28:29], v[22:23], v[0:1]
	v_mov_b64_e32 v[24:25], 0
	v_mov_b64_e32 v[26:27], 0
	v_mov_b32_e32 v34, 0
	s_mov_b32 s13, exec_lo
	v_cmpx_lt_i64_e64 v[28:29], v[10:11]
	s_cbranch_execz .LBB38_14
; %bb.13:                               ;   in Loop: Header=BB38_12 Depth=2
	v_lshlrev_b64_e32 v[24:25], 5, v[28:29]
	v_lshl_add_u64 v[26:27], v[28:29], 2, s[6:7]
	global_load_b32 v36, v[26:27], off
	v_add_nc_u64_e32 v[28:29], v[12:13], v[24:25]
	s_delay_alu instid0(VALU_DEP_1)
	v_add_nc_u64_e32 v[34:35], s[18:19], v[28:29]
	s_clause 0x1
	global_load_b64 v[24:25], v[28:29], off
	global_load_b64 v[26:27], v[34:35], off
	s_wait_loadcnt 0x2
	s_wait_xcnt 0x1
	v_subrev_nc_u32_e32 v28, s17, v36
	s_wait_xcnt 0x0
	s_delay_alu instid0(VALU_DEP_1)
	v_lshlrev_b32_e32 v34, 1, v28
.LBB38_14:                              ;   in Loop: Header=BB38_12 Depth=2
	s_or_b32 exec_lo, exec_lo, s13
	ds_store_b32 v32, v34
	s_wait_loadcnt 0x0
	ds_store_2addr_b64 v33, v[24:25], v[26:27] offset1:1
	s_wait_dscnt 0x0
	s_barrier_signal -1
	s_barrier_wait -1
	s_and_saveexec_b32 s2, vcc_lo
	s_cbranch_execz .LBB38_11
; %bb.15:                               ;   in Loop: Header=BB38_12 Depth=2
	v_mov_b32_e32 v24, v31
	s_mov_b32 s13, 0
.LBB38_16:                              ;   Parent Loop BB38_9 Depth=1
                                        ;     Parent Loop BB38_12 Depth=2
                                        ; =>    This Inner Loop Header: Depth=3
	s_delay_alu instid0(SALU_CYCLE_1) | instskip(SKIP_1) | instid1(SALU_CYCLE_1)
	v_add_nc_u32_e32 v25, s13, v30
	s_add_co_i32 s13, s13, 8
	s_cmp_lg_u32 s13, 64
	ds_load_b64 v[26:27], v25
	s_wait_dscnt 0x0
	v_dual_ashrrev_i32 v29, 31, v26 :: v_dual_add_nc_u32 v34, 1, v26
	v_dual_mov_b32 v28, v26 :: v_dual_add_nc_u32 v26, 1, v27
	s_delay_alu instid0(VALU_DEP_2) | instskip(SKIP_1) | instid1(VALU_DEP_2)
	v_ashrrev_i32_e32 v35, 31, v34
	s_wait_kmcnt 0x0
	v_mul_u64_e32 v[28:29], s[4:5], v[28:29]
	s_delay_alu instid0(VALU_DEP_2) | instskip(NEXT) | instid1(VALU_DEP_2)
	v_mul_u64_e32 v[34:35], s[4:5], v[34:35]
	v_lshl_add_u64 v[28:29], v[28:29], 3, v[20:21]
	s_delay_alu instid0(VALU_DEP_2)
	v_lshl_add_u64 v[34:35], v[34:35], 3, v[20:21]
	s_clause 0x1
	global_load_b64 v[38:39], v[28:29], off
	global_load_b64 v[40:41], v[34:35], off
	s_wait_xcnt 0x1
	v_dual_mov_b32 v28, v27 :: v_dual_ashrrev_i32 v29, 31, v27
	v_ashrrev_i32_e32 v27, 31, v26
	s_delay_alu instid0(VALU_DEP_2) | instskip(NEXT) | instid1(VALU_DEP_2)
	v_mul_u64_e32 v[28:29], s[4:5], v[28:29]
	v_mul_u64_e32 v[26:27], s[4:5], v[26:27]
	s_delay_alu instid0(VALU_DEP_2) | instskip(NEXT) | instid1(VALU_DEP_2)
	v_lshl_add_u64 v[28:29], v[28:29], 3, v[20:21]
	v_lshl_add_u64 v[26:27], v[26:27], 3, v[20:21]
	s_clause 0x1
	global_load_b64 v[42:43], v[28:29], off
	global_load_b64 v[44:45], v[26:27], off
	s_wait_xcnt 0x0
	ds_load_b128 v[26:29], v24
	ds_load_2addr_b64 v[34:37], v24 offset0:3 offset1:4
	v_add_nc_u32_e32 v24, 48, v24
	s_wait_loadcnt_dscnt 0x301
	v_fmac_f64_e32 v[18:19], v[26:27], v[38:39]
	s_wait_loadcnt 0x2
	s_delay_alu instid0(VALU_DEP_1) | instskip(SKIP_1) | instid1(VALU_DEP_1)
	v_fmac_f64_e32 v[18:19], v[28:29], v[40:41]
	s_wait_loadcnt_dscnt 0x100
	v_fmac_f64_e32 v[18:19], v[34:35], v[42:43]
	s_wait_loadcnt 0x0
	s_delay_alu instid0(VALU_DEP_1)
	v_fmac_f64_e32 v[18:19], v[36:37], v[44:45]
	s_cbranch_scc1 .LBB38_16
	s_branch .LBB38_11
.LBB38_17:                              ;   in Loop: Header=BB38_9 Depth=1
	s_or_b32 exec_lo, exec_lo, s12
.LBB38_18:                              ;   in Loop: Header=BB38_9 Depth=1
	s_delay_alu instid0(SALU_CYCLE_1) | instskip(NEXT) | instid1(SALU_CYCLE_1)
	s_or_b32 exec_lo, exec_lo, s9
	s_mov_b32 s2, exec_lo
	v_cmpx_gt_i32_e64 s22, v16
	s_cbranch_execz .LBB38_8
; %bb.19:                               ;   in Loop: Header=BB38_9 Depth=1
	s_and_saveexec_b32 s9, s0
	s_delay_alu instid0(SALU_CYCLE_1)
	s_xor_b32 s9, exec_lo, s9
	s_cbranch_execz .LBB38_24
; %bb.20:                               ;   in Loop: Header=BB38_9 Depth=1
	s_and_b32 vcc_lo, exec_lo, s3
	s_mov_b32 s12, -1
	s_cbranch_vccz .LBB38_22
; %bb.21:                               ;   in Loop: Header=BB38_9 Depth=1
	v_lshl_add_u64 v[20:21], v[16:17], 3, v[14:15]
	v_mul_f64_e32 v[24:25], v[2:3], v[18:19]
	s_mov_b32 s12, 0
	global_load_b64 v[22:23], v[20:21], off
	s_wait_loadcnt 0x0
	v_fmac_f64_e32 v[24:25], v[4:5], v[22:23]
	global_store_b64 v[20:21], v[24:25], off
.LBB38_22:                              ;   in Loop: Header=BB38_9 Depth=1
	s_and_not1_b32 vcc_lo, exec_lo, s12
	s_cbranch_vccnz .LBB38_24
; %bb.23:                               ;   in Loop: Header=BB38_9 Depth=1
	v_mul_u64_e32 v[16:17], s[14:15], v[16:17]
	v_mul_f64_e32 v[18:19], v[2:3], v[18:19]
	s_delay_alu instid0(VALU_DEP_2)
	v_lshl_add_u64 v[16:17], v[16:17], 3, v[6:7]
	global_load_b64 v[20:21], v[16:17], off
	s_wait_loadcnt 0x0
	v_fmac_f64_e32 v[18:19], v[4:5], v[20:21]
	global_store_b64 v[16:17], v[18:19], off
                                        ; implicit-def: $vgpr18_vgpr19
                                        ; implicit-def: $vgpr16
.LBB38_24:                              ;   in Loop: Header=BB38_9 Depth=1
	s_wait_xcnt 0x0
	s_and_not1_saveexec_b32 s9, s9
	s_cbranch_execz .LBB38_8
; %bb.25:                               ;   in Loop: Header=BB38_9 Depth=1
	v_mul_f64_e32 v[18:19], v[2:3], v[18:19]
	s_and_b32 vcc_lo, exec_lo, s3
	s_mov_b32 s9, -1
	s_cbranch_vccz .LBB38_27
; %bb.26:                               ;   in Loop: Header=BB38_9 Depth=1
	v_lshl_add_u64 v[20:21], v[16:17], 3, v[14:15]
	s_mov_b32 s9, 0
	global_store_b64 v[20:21], v[18:19], off
.LBB38_27:                              ;   in Loop: Header=BB38_9 Depth=1
	s_and_not1_b32 vcc_lo, exec_lo, s9
	s_cbranch_vccnz .LBB38_8
; %bb.28:                               ;   in Loop: Header=BB38_9 Depth=1
	v_mul_u64_e32 v[16:17], s[14:15], v[16:17]
	s_delay_alu instid0(VALU_DEP_1)
	v_lshl_add_u64 v[16:17], v[16:17], 3, v[6:7]
	global_store_b64 v[16:17], v[18:19], off
	s_branch .LBB38_8
.LBB38_29:
	s_endpgm
	.section	.rodata,"a",@progbits
	.p2align	6, 0x0
	.amdhsa_kernel _ZN9rocsparseL29bsrmmnt_small_blockdim_kernelILj64ELj16ELj2EliddddEEv20rocsparse_direction_T3_S2_llNS_24const_host_device_scalarIT7_EEPKT2_PKS2_PKT4_PKT5_llS5_PT6_ll16rocsparse_order_21rocsparse_index_base_b
		.amdhsa_group_segment_fixed_size 1792
		.amdhsa_private_segment_fixed_size 0
		.amdhsa_kernarg_size 392
		.amdhsa_user_sgpr_count 2
		.amdhsa_user_sgpr_dispatch_ptr 0
		.amdhsa_user_sgpr_queue_ptr 0
		.amdhsa_user_sgpr_kernarg_segment_ptr 1
		.amdhsa_user_sgpr_dispatch_id 0
		.amdhsa_user_sgpr_kernarg_preload_length 0
		.amdhsa_user_sgpr_kernarg_preload_offset 0
		.amdhsa_user_sgpr_private_segment_size 0
		.amdhsa_wavefront_size32 1
		.amdhsa_uses_dynamic_stack 0
		.amdhsa_enable_private_segment 0
		.amdhsa_system_sgpr_workgroup_id_x 1
		.amdhsa_system_sgpr_workgroup_id_y 0
		.amdhsa_system_sgpr_workgroup_id_z 0
		.amdhsa_system_sgpr_workgroup_info 0
		.amdhsa_system_vgpr_workitem_id 0
		.amdhsa_next_free_vgpr 46
		.amdhsa_next_free_sgpr 23
		.amdhsa_named_barrier_count 0
		.amdhsa_reserve_vcc 1
		.amdhsa_float_round_mode_32 0
		.amdhsa_float_round_mode_16_64 0
		.amdhsa_float_denorm_mode_32 3
		.amdhsa_float_denorm_mode_16_64 3
		.amdhsa_fp16_overflow 0
		.amdhsa_memory_ordered 1
		.amdhsa_forward_progress 1
		.amdhsa_inst_pref_size 11
		.amdhsa_round_robin_scheduling 0
		.amdhsa_exception_fp_ieee_invalid_op 0
		.amdhsa_exception_fp_denorm_src 0
		.amdhsa_exception_fp_ieee_div_zero 0
		.amdhsa_exception_fp_ieee_overflow 0
		.amdhsa_exception_fp_ieee_underflow 0
		.amdhsa_exception_fp_ieee_inexact 0
		.amdhsa_exception_int_div_zero 0
	.end_amdhsa_kernel
	.section	.text._ZN9rocsparseL29bsrmmnt_small_blockdim_kernelILj64ELj16ELj2EliddddEEv20rocsparse_direction_T3_S2_llNS_24const_host_device_scalarIT7_EEPKT2_PKS2_PKT4_PKT5_llS5_PT6_ll16rocsparse_order_21rocsparse_index_base_b,"axG",@progbits,_ZN9rocsparseL29bsrmmnt_small_blockdim_kernelILj64ELj16ELj2EliddddEEv20rocsparse_direction_T3_S2_llNS_24const_host_device_scalarIT7_EEPKT2_PKS2_PKT4_PKT5_llS5_PT6_ll16rocsparse_order_21rocsparse_index_base_b,comdat
.Lfunc_end38:
	.size	_ZN9rocsparseL29bsrmmnt_small_blockdim_kernelILj64ELj16ELj2EliddddEEv20rocsparse_direction_T3_S2_llNS_24const_host_device_scalarIT7_EEPKT2_PKS2_PKT4_PKT5_llS5_PT6_ll16rocsparse_order_21rocsparse_index_base_b, .Lfunc_end38-_ZN9rocsparseL29bsrmmnt_small_blockdim_kernelILj64ELj16ELj2EliddddEEv20rocsparse_direction_T3_S2_llNS_24const_host_device_scalarIT7_EEPKT2_PKS2_PKT4_PKT5_llS5_PT6_ll16rocsparse_order_21rocsparse_index_base_b
                                        ; -- End function
	.set _ZN9rocsparseL29bsrmmnt_small_blockdim_kernelILj64ELj16ELj2EliddddEEv20rocsparse_direction_T3_S2_llNS_24const_host_device_scalarIT7_EEPKT2_PKS2_PKT4_PKT5_llS5_PT6_ll16rocsparse_order_21rocsparse_index_base_b.num_vgpr, 46
	.set _ZN9rocsparseL29bsrmmnt_small_blockdim_kernelILj64ELj16ELj2EliddddEEv20rocsparse_direction_T3_S2_llNS_24const_host_device_scalarIT7_EEPKT2_PKS2_PKT4_PKT5_llS5_PT6_ll16rocsparse_order_21rocsparse_index_base_b.num_agpr, 0
	.set _ZN9rocsparseL29bsrmmnt_small_blockdim_kernelILj64ELj16ELj2EliddddEEv20rocsparse_direction_T3_S2_llNS_24const_host_device_scalarIT7_EEPKT2_PKS2_PKT4_PKT5_llS5_PT6_ll16rocsparse_order_21rocsparse_index_base_b.numbered_sgpr, 23
	.set _ZN9rocsparseL29bsrmmnt_small_blockdim_kernelILj64ELj16ELj2EliddddEEv20rocsparse_direction_T3_S2_llNS_24const_host_device_scalarIT7_EEPKT2_PKS2_PKT4_PKT5_llS5_PT6_ll16rocsparse_order_21rocsparse_index_base_b.num_named_barrier, 0
	.set _ZN9rocsparseL29bsrmmnt_small_blockdim_kernelILj64ELj16ELj2EliddddEEv20rocsparse_direction_T3_S2_llNS_24const_host_device_scalarIT7_EEPKT2_PKS2_PKT4_PKT5_llS5_PT6_ll16rocsparse_order_21rocsparse_index_base_b.private_seg_size, 0
	.set _ZN9rocsparseL29bsrmmnt_small_blockdim_kernelILj64ELj16ELj2EliddddEEv20rocsparse_direction_T3_S2_llNS_24const_host_device_scalarIT7_EEPKT2_PKS2_PKT4_PKT5_llS5_PT6_ll16rocsparse_order_21rocsparse_index_base_b.uses_vcc, 1
	.set _ZN9rocsparseL29bsrmmnt_small_blockdim_kernelILj64ELj16ELj2EliddddEEv20rocsparse_direction_T3_S2_llNS_24const_host_device_scalarIT7_EEPKT2_PKS2_PKT4_PKT5_llS5_PT6_ll16rocsparse_order_21rocsparse_index_base_b.uses_flat_scratch, 0
	.set _ZN9rocsparseL29bsrmmnt_small_blockdim_kernelILj64ELj16ELj2EliddddEEv20rocsparse_direction_T3_S2_llNS_24const_host_device_scalarIT7_EEPKT2_PKS2_PKT4_PKT5_llS5_PT6_ll16rocsparse_order_21rocsparse_index_base_b.has_dyn_sized_stack, 0
	.set _ZN9rocsparseL29bsrmmnt_small_blockdim_kernelILj64ELj16ELj2EliddddEEv20rocsparse_direction_T3_S2_llNS_24const_host_device_scalarIT7_EEPKT2_PKS2_PKT4_PKT5_llS5_PT6_ll16rocsparse_order_21rocsparse_index_base_b.has_recursion, 0
	.set _ZN9rocsparseL29bsrmmnt_small_blockdim_kernelILj64ELj16ELj2EliddddEEv20rocsparse_direction_T3_S2_llNS_24const_host_device_scalarIT7_EEPKT2_PKS2_PKT4_PKT5_llS5_PT6_ll16rocsparse_order_21rocsparse_index_base_b.has_indirect_call, 0
	.section	.AMDGPU.csdata,"",@progbits
; Kernel info:
; codeLenInByte = 1332
; TotalNumSgprs: 25
; NumVgprs: 46
; ScratchSize: 0
; MemoryBound: 0
; FloatMode: 240
; IeeeMode: 1
; LDSByteSize: 1792 bytes/workgroup (compile time only)
; SGPRBlocks: 0
; VGPRBlocks: 2
; NumSGPRsForWavesPerEU: 25
; NumVGPRsForWavesPerEU: 46
; NamedBarCnt: 0
; Occupancy: 16
; WaveLimiterHint : 1
; COMPUTE_PGM_RSRC2:SCRATCH_EN: 0
; COMPUTE_PGM_RSRC2:USER_SGPR: 2
; COMPUTE_PGM_RSRC2:TRAP_HANDLER: 0
; COMPUTE_PGM_RSRC2:TGID_X_EN: 1
; COMPUTE_PGM_RSRC2:TGID_Y_EN: 0
; COMPUTE_PGM_RSRC2:TGID_Z_EN: 0
; COMPUTE_PGM_RSRC2:TIDIG_COMP_CNT: 0
	.section	.text._ZN9rocsparseL29bsrmmnt_small_blockdim_kernelILj64ELj32ELj2EliddddEEv20rocsparse_direction_T3_S2_llNS_24const_host_device_scalarIT7_EEPKT2_PKS2_PKT4_PKT5_llS5_PT6_ll16rocsparse_order_21rocsparse_index_base_b,"axG",@progbits,_ZN9rocsparseL29bsrmmnt_small_blockdim_kernelILj64ELj32ELj2EliddddEEv20rocsparse_direction_T3_S2_llNS_24const_host_device_scalarIT7_EEPKT2_PKS2_PKT4_PKT5_llS5_PT6_ll16rocsparse_order_21rocsparse_index_base_b,comdat
	.globl	_ZN9rocsparseL29bsrmmnt_small_blockdim_kernelILj64ELj32ELj2EliddddEEv20rocsparse_direction_T3_S2_llNS_24const_host_device_scalarIT7_EEPKT2_PKS2_PKT4_PKT5_llS5_PT6_ll16rocsparse_order_21rocsparse_index_base_b ; -- Begin function _ZN9rocsparseL29bsrmmnt_small_blockdim_kernelILj64ELj32ELj2EliddddEEv20rocsparse_direction_T3_S2_llNS_24const_host_device_scalarIT7_EEPKT2_PKS2_PKT4_PKT5_llS5_PT6_ll16rocsparse_order_21rocsparse_index_base_b
	.p2align	8
	.type	_ZN9rocsparseL29bsrmmnt_small_blockdim_kernelILj64ELj32ELj2EliddddEEv20rocsparse_direction_T3_S2_llNS_24const_host_device_scalarIT7_EEPKT2_PKS2_PKT4_PKT5_llS5_PT6_ll16rocsparse_order_21rocsparse_index_base_b,@function
_ZN9rocsparseL29bsrmmnt_small_blockdim_kernelILj64ELj32ELj2EliddddEEv20rocsparse_direction_T3_S2_llNS_24const_host_device_scalarIT7_EEPKT2_PKS2_PKT4_PKT5_llS5_PT6_ll16rocsparse_order_21rocsparse_index_base_b: ; @_ZN9rocsparseL29bsrmmnt_small_blockdim_kernelILj64ELj32ELj2EliddddEEv20rocsparse_direction_T3_S2_llNS_24const_host_device_scalarIT7_EEPKT2_PKS2_PKT4_PKT5_llS5_PT6_ll16rocsparse_order_21rocsparse_index_base_b
; %bb.0:
	s_clause 0x2
	s_load_b96 s[16:18], s[0:1], 0x78
	s_load_b64 s[4:5], s[0:1], 0x20
	s_load_b64 s[2:3], s[0:1], 0x58
	s_wait_kmcnt 0x0
	s_bitcmp1_b32 s18, 0
	v_mov_b64_e32 v[2:3], s[4:5]
	s_cselect_b32 s6, -1, 0
	s_delay_alu instid0(SALU_CYCLE_1)
	s_and_b32 vcc_lo, exec_lo, s6
	s_xor_b32 s6, s6, -1
	s_cbranch_vccnz .LBB39_2
; %bb.1:
	v_mov_b32_e32 v1, 0
	flat_load_b64 v[2:3], v1, s[4:5]
.LBB39_2:
	v_mov_b64_e32 v[4:5], s[2:3]
	s_and_not1_b32 vcc_lo, exec_lo, s6
	s_cbranch_vccnz .LBB39_4
; %bb.3:
	s_wait_xcnt 0x0
	v_mov_b32_e32 v1, 0
	flat_load_b64 v[4:5], v1, s[2:3]
.LBB39_4:
	s_wait_loadcnt_dscnt 0x0
	v_cmp_neq_f64_e32 vcc_lo, 0, v[2:3]
	s_delay_alu instid0(VALU_DEP_2) | instskip(SKIP_1) | instid1(SALU_CYCLE_1)
	v_cmp_neq_f64_e64 s2, 1.0, v[4:5]
	s_or_b32 s2, vcc_lo, s2
	s_and_saveexec_b32 s3, s2
	s_cbranch_execz .LBB39_29
; %bb.5:
	s_clause 0x1
	s_load_b32 s2, s[0:1], 0x94
	s_load_b96 s[20:22], s[0:1], 0x0
	s_bfe_u32 s3, ttmp6, 0x4000c
	s_and_b32 s4, ttmp6, 15
	s_add_co_i32 s3, s3, 1
	s_getreg_b32 s5, hwreg(HW_REG_IB_STS2, 6, 4)
	s_mul_i32 s3, ttmp9, s3
	s_delay_alu instid0(SALU_CYCLE_1) | instskip(SKIP_4) | instid1(SALU_CYCLE_1)
	s_add_co_i32 s4, s4, s3
	s_wait_kmcnt 0x0
	s_and_b32 s2, s2, 0xffff
	s_cmp_eq_u32 s5, 0
	s_cselect_b32 s3, ttmp9, s4
	v_mad_u32 v6, s3, s2, v0
	s_delay_alu instid0(VALU_DEP_1) | instskip(NEXT) | instid1(VALU_DEP_1)
	v_lshrrev_b32_e32 v1, 6, v6
	v_cmp_gt_i32_e32 vcc_lo, s21, v1
	s_and_b32 exec_lo, exec_lo, vcc_lo
	s_cbranch_execz .LBB39_29
; %bb.6:
	s_cmp_lt_i32 s22, 1
	s_cbranch_scc1 .LBB39_29
; %bb.7:
	s_load_b256 s[4:11], s[0:1], 0x28
	v_dual_lshlrev_b32 v1, 3, v1 :: v_dual_lshrrev_b32 v8, 5, v6
	s_load_b128 s[12:15], s[0:1], 0x60
	s_cmp_lg_u32 s16, 1
	s_mov_b32 s19, 0
	s_cselect_b32 s3, -1, 0
	s_cmp_eq_u32 s20, 0
	s_mov_b32 s18, s17
	s_cselect_b32 s2, -1, 0
	v_lshrrev_b32_e32 v7, 5, v0
	v_cndmask_b32_e64 v10, 0, 1, s2
	s_and_b32 s2, s2, exec_lo
	v_and_b32_e32 v0, 31, v0
	s_delay_alu instid0(VALU_DEP_3) | instskip(SKIP_1) | instid1(VALU_DEP_3)
	v_lshl_or_b32 v30, v7, 7, 0x600
	v_mul_u32_u24_e32 v31, 0x300, v7
	v_mul_u32_u24_e32 v20, 24, v0
	s_wait_kmcnt 0x0
	global_load_b128 v[12:15], v1, s[4:5]
	s_wait_xcnt 0x0
	v_mov_b32_e32 v1, 0
	s_load_b64 s[4:5], s[0:1], 0x48
	s_wait_xcnt 0x0
	v_cmp_neq_f64_e64 s0, 0, v[4:5]
	v_lshl_or_b32 v32, v0, 2, v30
	v_dual_add_nc_u32 v33, v31, v20 :: v_dual_mov_b32 v9, v1
	v_dual_mov_b32 v7, v1 :: v_dual_mov_b32 v19, v1
	s_delay_alu instid0(VALU_DEP_2) | instskip(SKIP_1) | instid1(VALU_DEP_1)
	v_mul_u64_e32 v[16:17], s[14:15], v[8:9]
	v_bfe_u32 v9, v6, 5, 1
	v_dual_lshlrev_b32 v6, 3, v8 :: v_dual_lshlrev_b32 v8, v10, v9
	s_delay_alu instid0(VALU_DEP_1) | instskip(NEXT) | instid1(VALU_DEP_2)
	v_add_nc_u64_e32 v[6:7], s[12:13], v[6:7]
	v_lshlrev_b32_e32 v18, 3, v8
	s_wait_loadcnt 0x0
	v_sub_nc_u64_e64 v[8:9], v[12:13], s[18:19]
	v_sub_nc_u64_e64 v[10:11], v[14:15], s[18:19]
	v_cmp_lt_i64_e64 s1, v[12:13], v[14:15]
	v_add_nc_u64_e32 v[12:13], s[8:9], v[18:19]
	v_lshl_add_u64 v[14:15], v[16:17], 3, s[12:13]
	s_cselect_b32 s18, 8, 16
	s_mov_b32 s8, s19
	s_branch .LBB39_9
.LBB39_8:                               ;   in Loop: Header=BB39_9 Depth=1
	s_wait_xcnt 0x0
	s_or_b32 exec_lo, exec_lo, s2
	s_add_co_i32 s8, s8, 32
	s_delay_alu instid0(SALU_CYCLE_1)
	s_cmp_lt_i32 s8, s22
	s_cbranch_scc0 .LBB39_29
.LBB39_9:                               ; =>This Loop Header: Depth=1
                                        ;     Child Loop BB39_12 Depth 2
                                        ;       Child Loop BB39_16 Depth 3
	v_or_b32_e32 v16, s8, v0
	v_mov_b64_e32 v[18:19], 0
	s_delay_alu instid0(VALU_DEP_2)
	v_ashrrev_i32_e32 v17, 31, v16
	s_and_saveexec_b32 s9, s1
	s_cbranch_execz .LBB39_18
; %bb.10:                               ;   in Loop: Header=BB39_9 Depth=1
	v_mov_b64_e32 v[18:19], 0
	v_mov_b64_e32 v[22:23], v[8:9]
	v_lshl_add_u64 v[20:21], v[16:17], 3, s[10:11]
	s_mov_b32 s12, 0
	v_cmp_gt_i32_e32 vcc_lo, s22, v16
	s_branch .LBB39_12
.LBB39_11:                              ;   in Loop: Header=BB39_12 Depth=2
	s_or_b32 exec_lo, exec_lo, s2
	v_add_nc_u64_e32 v[22:23], 32, v[22:23]
	s_delay_alu instid0(VALU_DEP_1) | instskip(SKIP_1) | instid1(SALU_CYCLE_1)
	v_cmp_ge_i64_e64 s2, v[22:23], v[10:11]
	s_or_b32 s12, s2, s12
	s_and_not1_b32 exec_lo, exec_lo, s12
	s_cbranch_execz .LBB39_17
.LBB39_12:                              ;   Parent Loop BB39_9 Depth=1
                                        ; =>  This Loop Header: Depth=2
                                        ;       Child Loop BB39_16 Depth 3
	s_delay_alu instid0(VALU_DEP_3) | instskip(SKIP_4) | instid1(VALU_DEP_4)
	v_add_nc_u64_e32 v[28:29], v[22:23], v[0:1]
	v_mov_b64_e32 v[24:25], 0
	v_mov_b64_e32 v[26:27], 0
	v_mov_b32_e32 v34, 0
	s_mov_b32 s13, exec_lo
	v_cmpx_lt_i64_e64 v[28:29], v[10:11]
	s_cbranch_execz .LBB39_14
; %bb.13:                               ;   in Loop: Header=BB39_12 Depth=2
	v_lshlrev_b64_e32 v[24:25], 5, v[28:29]
	v_lshl_add_u64 v[26:27], v[28:29], 2, s[6:7]
	global_load_b32 v36, v[26:27], off
	v_add_nc_u64_e32 v[28:29], v[12:13], v[24:25]
	s_delay_alu instid0(VALU_DEP_1)
	v_add_nc_u64_e32 v[34:35], s[18:19], v[28:29]
	s_clause 0x1
	global_load_b64 v[24:25], v[28:29], off
	global_load_b64 v[26:27], v[34:35], off
	s_wait_loadcnt 0x2
	s_wait_xcnt 0x1
	v_subrev_nc_u32_e32 v28, s17, v36
	s_wait_xcnt 0x0
	s_delay_alu instid0(VALU_DEP_1)
	v_lshlrev_b32_e32 v34, 1, v28
.LBB39_14:                              ;   in Loop: Header=BB39_12 Depth=2
	s_or_b32 exec_lo, exec_lo, s13
	ds_store_b32 v32, v34
	s_wait_loadcnt 0x0
	ds_store_2addr_b64 v33, v[24:25], v[26:27] offset1:1
	s_wait_dscnt 0x0
	s_barrier_signal -1
	s_barrier_wait -1
	s_and_saveexec_b32 s2, vcc_lo
	s_cbranch_execz .LBB39_11
; %bb.15:                               ;   in Loop: Header=BB39_12 Depth=2
	v_mov_b32_e32 v24, v31
	s_mov_b32 s13, 0
.LBB39_16:                              ;   Parent Loop BB39_9 Depth=1
                                        ;     Parent Loop BB39_12 Depth=2
                                        ; =>    This Inner Loop Header: Depth=3
	s_delay_alu instid0(SALU_CYCLE_1) | instskip(SKIP_1) | instid1(SALU_CYCLE_1)
	v_add_nc_u32_e32 v25, s13, v30
	s_add_co_i32 s13, s13, 8
	s_cmp_lg_u32 s13, 0x80
	ds_load_b64 v[26:27], v25
	s_wait_dscnt 0x0
	v_dual_ashrrev_i32 v29, 31, v26 :: v_dual_add_nc_u32 v34, 1, v26
	v_dual_mov_b32 v28, v26 :: v_dual_add_nc_u32 v26, 1, v27
	s_delay_alu instid0(VALU_DEP_2) | instskip(SKIP_1) | instid1(VALU_DEP_2)
	v_ashrrev_i32_e32 v35, 31, v34
	s_wait_kmcnt 0x0
	v_mul_u64_e32 v[28:29], s[4:5], v[28:29]
	s_delay_alu instid0(VALU_DEP_2) | instskip(NEXT) | instid1(VALU_DEP_2)
	v_mul_u64_e32 v[34:35], s[4:5], v[34:35]
	v_lshl_add_u64 v[28:29], v[28:29], 3, v[20:21]
	s_delay_alu instid0(VALU_DEP_2)
	v_lshl_add_u64 v[34:35], v[34:35], 3, v[20:21]
	s_clause 0x1
	global_load_b64 v[38:39], v[28:29], off
	global_load_b64 v[40:41], v[34:35], off
	s_wait_xcnt 0x1
	v_dual_mov_b32 v28, v27 :: v_dual_ashrrev_i32 v29, 31, v27
	v_ashrrev_i32_e32 v27, 31, v26
	s_delay_alu instid0(VALU_DEP_2) | instskip(NEXT) | instid1(VALU_DEP_2)
	v_mul_u64_e32 v[28:29], s[4:5], v[28:29]
	v_mul_u64_e32 v[26:27], s[4:5], v[26:27]
	s_delay_alu instid0(VALU_DEP_2) | instskip(NEXT) | instid1(VALU_DEP_2)
	v_lshl_add_u64 v[28:29], v[28:29], 3, v[20:21]
	v_lshl_add_u64 v[26:27], v[26:27], 3, v[20:21]
	s_clause 0x1
	global_load_b64 v[42:43], v[28:29], off
	global_load_b64 v[44:45], v[26:27], off
	s_wait_xcnt 0x0
	ds_load_b128 v[26:29], v24
	ds_load_2addr_b64 v[34:37], v24 offset0:3 offset1:4
	v_add_nc_u32_e32 v24, 48, v24
	s_wait_loadcnt_dscnt 0x301
	v_fmac_f64_e32 v[18:19], v[26:27], v[38:39]
	s_wait_loadcnt 0x2
	s_delay_alu instid0(VALU_DEP_1) | instskip(SKIP_1) | instid1(VALU_DEP_1)
	v_fmac_f64_e32 v[18:19], v[28:29], v[40:41]
	s_wait_loadcnt_dscnt 0x100
	v_fmac_f64_e32 v[18:19], v[34:35], v[42:43]
	s_wait_loadcnt 0x0
	s_delay_alu instid0(VALU_DEP_1)
	v_fmac_f64_e32 v[18:19], v[36:37], v[44:45]
	s_cbranch_scc1 .LBB39_16
	s_branch .LBB39_11
.LBB39_17:                              ;   in Loop: Header=BB39_9 Depth=1
	s_or_b32 exec_lo, exec_lo, s12
.LBB39_18:                              ;   in Loop: Header=BB39_9 Depth=1
	s_delay_alu instid0(SALU_CYCLE_1) | instskip(NEXT) | instid1(SALU_CYCLE_1)
	s_or_b32 exec_lo, exec_lo, s9
	s_mov_b32 s2, exec_lo
	v_cmpx_gt_i32_e64 s22, v16
	s_cbranch_execz .LBB39_8
; %bb.19:                               ;   in Loop: Header=BB39_9 Depth=1
	s_and_saveexec_b32 s9, s0
	s_delay_alu instid0(SALU_CYCLE_1)
	s_xor_b32 s9, exec_lo, s9
	s_cbranch_execz .LBB39_24
; %bb.20:                               ;   in Loop: Header=BB39_9 Depth=1
	s_and_b32 vcc_lo, exec_lo, s3
	s_mov_b32 s12, -1
	s_cbranch_vccz .LBB39_22
; %bb.21:                               ;   in Loop: Header=BB39_9 Depth=1
	v_lshl_add_u64 v[20:21], v[16:17], 3, v[14:15]
	v_mul_f64_e32 v[24:25], v[2:3], v[18:19]
	s_mov_b32 s12, 0
	global_load_b64 v[22:23], v[20:21], off
	s_wait_loadcnt 0x0
	v_fmac_f64_e32 v[24:25], v[4:5], v[22:23]
	global_store_b64 v[20:21], v[24:25], off
.LBB39_22:                              ;   in Loop: Header=BB39_9 Depth=1
	s_and_not1_b32 vcc_lo, exec_lo, s12
	s_cbranch_vccnz .LBB39_24
; %bb.23:                               ;   in Loop: Header=BB39_9 Depth=1
	v_mul_u64_e32 v[16:17], s[14:15], v[16:17]
	v_mul_f64_e32 v[18:19], v[2:3], v[18:19]
	s_delay_alu instid0(VALU_DEP_2)
	v_lshl_add_u64 v[16:17], v[16:17], 3, v[6:7]
	global_load_b64 v[20:21], v[16:17], off
	s_wait_loadcnt 0x0
	v_fmac_f64_e32 v[18:19], v[4:5], v[20:21]
	global_store_b64 v[16:17], v[18:19], off
                                        ; implicit-def: $vgpr18_vgpr19
                                        ; implicit-def: $vgpr16
.LBB39_24:                              ;   in Loop: Header=BB39_9 Depth=1
	s_wait_xcnt 0x0
	s_and_not1_saveexec_b32 s9, s9
	s_cbranch_execz .LBB39_8
; %bb.25:                               ;   in Loop: Header=BB39_9 Depth=1
	v_mul_f64_e32 v[18:19], v[2:3], v[18:19]
	s_and_b32 vcc_lo, exec_lo, s3
	s_mov_b32 s9, -1
	s_cbranch_vccz .LBB39_27
; %bb.26:                               ;   in Loop: Header=BB39_9 Depth=1
	v_lshl_add_u64 v[20:21], v[16:17], 3, v[14:15]
	s_mov_b32 s9, 0
	global_store_b64 v[20:21], v[18:19], off
.LBB39_27:                              ;   in Loop: Header=BB39_9 Depth=1
	s_and_not1_b32 vcc_lo, exec_lo, s9
	s_cbranch_vccnz .LBB39_8
; %bb.28:                               ;   in Loop: Header=BB39_9 Depth=1
	v_mul_u64_e32 v[16:17], s[14:15], v[16:17]
	s_delay_alu instid0(VALU_DEP_1)
	v_lshl_add_u64 v[16:17], v[16:17], 3, v[6:7]
	global_store_b64 v[16:17], v[18:19], off
	s_branch .LBB39_8
.LBB39_29:
	s_endpgm
	.section	.rodata,"a",@progbits
	.p2align	6, 0x0
	.amdhsa_kernel _ZN9rocsparseL29bsrmmnt_small_blockdim_kernelILj64ELj32ELj2EliddddEEv20rocsparse_direction_T3_S2_llNS_24const_host_device_scalarIT7_EEPKT2_PKS2_PKT4_PKT5_llS5_PT6_ll16rocsparse_order_21rocsparse_index_base_b
		.amdhsa_group_segment_fixed_size 1792
		.amdhsa_private_segment_fixed_size 0
		.amdhsa_kernarg_size 392
		.amdhsa_user_sgpr_count 2
		.amdhsa_user_sgpr_dispatch_ptr 0
		.amdhsa_user_sgpr_queue_ptr 0
		.amdhsa_user_sgpr_kernarg_segment_ptr 1
		.amdhsa_user_sgpr_dispatch_id 0
		.amdhsa_user_sgpr_kernarg_preload_length 0
		.amdhsa_user_sgpr_kernarg_preload_offset 0
		.amdhsa_user_sgpr_private_segment_size 0
		.amdhsa_wavefront_size32 1
		.amdhsa_uses_dynamic_stack 0
		.amdhsa_enable_private_segment 0
		.amdhsa_system_sgpr_workgroup_id_x 1
		.amdhsa_system_sgpr_workgroup_id_y 0
		.amdhsa_system_sgpr_workgroup_id_z 0
		.amdhsa_system_sgpr_workgroup_info 0
		.amdhsa_system_vgpr_workitem_id 0
		.amdhsa_next_free_vgpr 46
		.amdhsa_next_free_sgpr 23
		.amdhsa_named_barrier_count 0
		.amdhsa_reserve_vcc 1
		.amdhsa_float_round_mode_32 0
		.amdhsa_float_round_mode_16_64 0
		.amdhsa_float_denorm_mode_32 3
		.amdhsa_float_denorm_mode_16_64 3
		.amdhsa_fp16_overflow 0
		.amdhsa_memory_ordered 1
		.amdhsa_forward_progress 1
		.amdhsa_inst_pref_size 11
		.amdhsa_round_robin_scheduling 0
		.amdhsa_exception_fp_ieee_invalid_op 0
		.amdhsa_exception_fp_denorm_src 0
		.amdhsa_exception_fp_ieee_div_zero 0
		.amdhsa_exception_fp_ieee_overflow 0
		.amdhsa_exception_fp_ieee_underflow 0
		.amdhsa_exception_fp_ieee_inexact 0
		.amdhsa_exception_int_div_zero 0
	.end_amdhsa_kernel
	.section	.text._ZN9rocsparseL29bsrmmnt_small_blockdim_kernelILj64ELj32ELj2EliddddEEv20rocsparse_direction_T3_S2_llNS_24const_host_device_scalarIT7_EEPKT2_PKS2_PKT4_PKT5_llS5_PT6_ll16rocsparse_order_21rocsparse_index_base_b,"axG",@progbits,_ZN9rocsparseL29bsrmmnt_small_blockdim_kernelILj64ELj32ELj2EliddddEEv20rocsparse_direction_T3_S2_llNS_24const_host_device_scalarIT7_EEPKT2_PKS2_PKT4_PKT5_llS5_PT6_ll16rocsparse_order_21rocsparse_index_base_b,comdat
.Lfunc_end39:
	.size	_ZN9rocsparseL29bsrmmnt_small_blockdim_kernelILj64ELj32ELj2EliddddEEv20rocsparse_direction_T3_S2_llNS_24const_host_device_scalarIT7_EEPKT2_PKS2_PKT4_PKT5_llS5_PT6_ll16rocsparse_order_21rocsparse_index_base_b, .Lfunc_end39-_ZN9rocsparseL29bsrmmnt_small_blockdim_kernelILj64ELj32ELj2EliddddEEv20rocsparse_direction_T3_S2_llNS_24const_host_device_scalarIT7_EEPKT2_PKS2_PKT4_PKT5_llS5_PT6_ll16rocsparse_order_21rocsparse_index_base_b
                                        ; -- End function
	.set _ZN9rocsparseL29bsrmmnt_small_blockdim_kernelILj64ELj32ELj2EliddddEEv20rocsparse_direction_T3_S2_llNS_24const_host_device_scalarIT7_EEPKT2_PKS2_PKT4_PKT5_llS5_PT6_ll16rocsparse_order_21rocsparse_index_base_b.num_vgpr, 46
	.set _ZN9rocsparseL29bsrmmnt_small_blockdim_kernelILj64ELj32ELj2EliddddEEv20rocsparse_direction_T3_S2_llNS_24const_host_device_scalarIT7_EEPKT2_PKS2_PKT4_PKT5_llS5_PT6_ll16rocsparse_order_21rocsparse_index_base_b.num_agpr, 0
	.set _ZN9rocsparseL29bsrmmnt_small_blockdim_kernelILj64ELj32ELj2EliddddEEv20rocsparse_direction_T3_S2_llNS_24const_host_device_scalarIT7_EEPKT2_PKS2_PKT4_PKT5_llS5_PT6_ll16rocsparse_order_21rocsparse_index_base_b.numbered_sgpr, 23
	.set _ZN9rocsparseL29bsrmmnt_small_blockdim_kernelILj64ELj32ELj2EliddddEEv20rocsparse_direction_T3_S2_llNS_24const_host_device_scalarIT7_EEPKT2_PKS2_PKT4_PKT5_llS5_PT6_ll16rocsparse_order_21rocsparse_index_base_b.num_named_barrier, 0
	.set _ZN9rocsparseL29bsrmmnt_small_blockdim_kernelILj64ELj32ELj2EliddddEEv20rocsparse_direction_T3_S2_llNS_24const_host_device_scalarIT7_EEPKT2_PKS2_PKT4_PKT5_llS5_PT6_ll16rocsparse_order_21rocsparse_index_base_b.private_seg_size, 0
	.set _ZN9rocsparseL29bsrmmnt_small_blockdim_kernelILj64ELj32ELj2EliddddEEv20rocsparse_direction_T3_S2_llNS_24const_host_device_scalarIT7_EEPKT2_PKS2_PKT4_PKT5_llS5_PT6_ll16rocsparse_order_21rocsparse_index_base_b.uses_vcc, 1
	.set _ZN9rocsparseL29bsrmmnt_small_blockdim_kernelILj64ELj32ELj2EliddddEEv20rocsparse_direction_T3_S2_llNS_24const_host_device_scalarIT7_EEPKT2_PKS2_PKT4_PKT5_llS5_PT6_ll16rocsparse_order_21rocsparse_index_base_b.uses_flat_scratch, 0
	.set _ZN9rocsparseL29bsrmmnt_small_blockdim_kernelILj64ELj32ELj2EliddddEEv20rocsparse_direction_T3_S2_llNS_24const_host_device_scalarIT7_EEPKT2_PKS2_PKT4_PKT5_llS5_PT6_ll16rocsparse_order_21rocsparse_index_base_b.has_dyn_sized_stack, 0
	.set _ZN9rocsparseL29bsrmmnt_small_blockdim_kernelILj64ELj32ELj2EliddddEEv20rocsparse_direction_T3_S2_llNS_24const_host_device_scalarIT7_EEPKT2_PKS2_PKT4_PKT5_llS5_PT6_ll16rocsparse_order_21rocsparse_index_base_b.has_recursion, 0
	.set _ZN9rocsparseL29bsrmmnt_small_blockdim_kernelILj64ELj32ELj2EliddddEEv20rocsparse_direction_T3_S2_llNS_24const_host_device_scalarIT7_EEPKT2_PKS2_PKT4_PKT5_llS5_PT6_ll16rocsparse_order_21rocsparse_index_base_b.has_indirect_call, 0
	.section	.AMDGPU.csdata,"",@progbits
; Kernel info:
; codeLenInByte = 1336
; TotalNumSgprs: 25
; NumVgprs: 46
; ScratchSize: 0
; MemoryBound: 0
; FloatMode: 240
; IeeeMode: 1
; LDSByteSize: 1792 bytes/workgroup (compile time only)
; SGPRBlocks: 0
; VGPRBlocks: 2
; NumSGPRsForWavesPerEU: 25
; NumVGPRsForWavesPerEU: 46
; NamedBarCnt: 0
; Occupancy: 16
; WaveLimiterHint : 1
; COMPUTE_PGM_RSRC2:SCRATCH_EN: 0
; COMPUTE_PGM_RSRC2:USER_SGPR: 2
; COMPUTE_PGM_RSRC2:TRAP_HANDLER: 0
; COMPUTE_PGM_RSRC2:TGID_X_EN: 1
; COMPUTE_PGM_RSRC2:TGID_Y_EN: 0
; COMPUTE_PGM_RSRC2:TGID_Z_EN: 0
; COMPUTE_PGM_RSRC2:TIDIG_COMP_CNT: 0
	.section	.text._ZN9rocsparseL29bsrmmnt_small_blockdim_kernelILj64ELj64ELj2EliddddEEv20rocsparse_direction_T3_S2_llNS_24const_host_device_scalarIT7_EEPKT2_PKS2_PKT4_PKT5_llS5_PT6_ll16rocsparse_order_21rocsparse_index_base_b,"axG",@progbits,_ZN9rocsparseL29bsrmmnt_small_blockdim_kernelILj64ELj64ELj2EliddddEEv20rocsparse_direction_T3_S2_llNS_24const_host_device_scalarIT7_EEPKT2_PKS2_PKT4_PKT5_llS5_PT6_ll16rocsparse_order_21rocsparse_index_base_b,comdat
	.globl	_ZN9rocsparseL29bsrmmnt_small_blockdim_kernelILj64ELj64ELj2EliddddEEv20rocsparse_direction_T3_S2_llNS_24const_host_device_scalarIT7_EEPKT2_PKS2_PKT4_PKT5_llS5_PT6_ll16rocsparse_order_21rocsparse_index_base_b ; -- Begin function _ZN9rocsparseL29bsrmmnt_small_blockdim_kernelILj64ELj64ELj2EliddddEEv20rocsparse_direction_T3_S2_llNS_24const_host_device_scalarIT7_EEPKT2_PKS2_PKT4_PKT5_llS5_PT6_ll16rocsparse_order_21rocsparse_index_base_b
	.p2align	8
	.type	_ZN9rocsparseL29bsrmmnt_small_blockdim_kernelILj64ELj64ELj2EliddddEEv20rocsparse_direction_T3_S2_llNS_24const_host_device_scalarIT7_EEPKT2_PKS2_PKT4_PKT5_llS5_PT6_ll16rocsparse_order_21rocsparse_index_base_b,@function
_ZN9rocsparseL29bsrmmnt_small_blockdim_kernelILj64ELj64ELj2EliddddEEv20rocsparse_direction_T3_S2_llNS_24const_host_device_scalarIT7_EEPKT2_PKS2_PKT4_PKT5_llS5_PT6_ll16rocsparse_order_21rocsparse_index_base_b: ; @_ZN9rocsparseL29bsrmmnt_small_blockdim_kernelILj64ELj64ELj2EliddddEEv20rocsparse_direction_T3_S2_llNS_24const_host_device_scalarIT7_EEPKT2_PKS2_PKT4_PKT5_llS5_PT6_ll16rocsparse_order_21rocsparse_index_base_b
; %bb.0:
	s_clause 0x2
	s_load_b96 s[16:18], s[0:1], 0x78
	s_load_b64 s[4:5], s[0:1], 0x20
	s_load_b64 s[2:3], s[0:1], 0x58
	s_wait_kmcnt 0x0
	s_bitcmp1_b32 s18, 0
	v_mov_b64_e32 v[2:3], s[4:5]
	s_cselect_b32 s6, -1, 0
	s_delay_alu instid0(SALU_CYCLE_1)
	s_and_b32 vcc_lo, exec_lo, s6
	s_xor_b32 s6, s6, -1
	s_cbranch_vccnz .LBB40_2
; %bb.1:
	v_mov_b32_e32 v1, 0
	flat_load_b64 v[2:3], v1, s[4:5]
.LBB40_2:
	v_mov_b64_e32 v[4:5], s[2:3]
	s_and_not1_b32 vcc_lo, exec_lo, s6
	s_cbranch_vccnz .LBB40_4
; %bb.3:
	s_wait_xcnt 0x0
	v_mov_b32_e32 v1, 0
	flat_load_b64 v[4:5], v1, s[2:3]
.LBB40_4:
	s_wait_loadcnt_dscnt 0x0
	v_cmp_neq_f64_e32 vcc_lo, 0, v[2:3]
	s_delay_alu instid0(VALU_DEP_2) | instskip(SKIP_1) | instid1(SALU_CYCLE_1)
	v_cmp_neq_f64_e64 s2, 1.0, v[4:5]
	s_or_b32 s2, vcc_lo, s2
	s_and_saveexec_b32 s3, s2
	s_cbranch_execz .LBB40_29
; %bb.5:
	s_clause 0x1
	s_load_b32 s2, s[0:1], 0x94
	s_load_b96 s[20:22], s[0:1], 0x0
	s_bfe_u32 s3, ttmp6, 0x4000c
	s_and_b32 s4, ttmp6, 15
	s_add_co_i32 s3, s3, 1
	s_getreg_b32 s5, hwreg(HW_REG_IB_STS2, 6, 4)
	s_mul_i32 s3, ttmp9, s3
	s_delay_alu instid0(SALU_CYCLE_1) | instskip(SKIP_4) | instid1(SALU_CYCLE_1)
	s_add_co_i32 s4, s4, s3
	s_wait_kmcnt 0x0
	s_and_b32 s2, s2, 0xffff
	s_cmp_eq_u32 s5, 0
	s_cselect_b32 s3, ttmp9, s4
	v_mad_u32 v6, s3, s2, v0
	s_delay_alu instid0(VALU_DEP_1) | instskip(NEXT) | instid1(VALU_DEP_1)
	v_lshrrev_b32_e32 v1, 7, v6
	v_cmp_gt_i32_e32 vcc_lo, s21, v1
	s_and_b32 exec_lo, exec_lo, vcc_lo
	s_cbranch_execz .LBB40_29
; %bb.6:
	s_cmp_lt_i32 s22, 1
	s_cbranch_scc1 .LBB40_29
; %bb.7:
	s_load_b256 s[4:11], s[0:1], 0x28
	v_dual_lshlrev_b32 v1, 3, v1 :: v_dual_lshrrev_b32 v8, 6, v6
	s_load_b128 s[12:15], s[0:1], 0x60
	v_bfe_u32 v7, v6, 6, 1
	s_cmp_lg_u32 s16, 1
	s_mov_b32 s19, 0
	s_cselect_b32 s3, -1, 0
	s_cmp_eq_u32 s20, 0
	s_mov_b32 s18, s17
	s_cselect_b32 s2, -1, 0
	v_lshl_or_b32 v30, v0, 2, 0x600
	v_mul_u32_u24_e32 v31, 24, v0
	v_lshlrev_b32_e32 v6, 3, v8
	s_wait_kmcnt 0x0
	global_load_b128 v[12:15], v1, s[4:5]
	s_wait_xcnt 0x0
	v_mov_b32_e32 v1, 0
	s_load_b64 s[4:5], s[0:1], 0x48
	s_wait_xcnt 0x0
	v_cmp_neq_f64_e64 s0, 0, v[4:5]
	s_delay_alu instid0(VALU_DEP_2) | instskip(NEXT) | instid1(VALU_DEP_1)
	v_mov_b32_e32 v9, v1
	v_mul_u64_e32 v[16:17], s[14:15], v[8:9]
	v_cndmask_b32_e64 v9, 0, 1, s2
	s_and_b32 s2, s2, exec_lo
	s_delay_alu instid0(VALU_DEP_1) | instskip(SKIP_1) | instid1(VALU_DEP_2)
	v_lshlrev_b32_e32 v8, v9, v7
	v_dual_mov_b32 v7, v1 :: v_dual_mov_b32 v19, v1
	v_lshlrev_b32_e32 v18, 3, v8
	s_delay_alu instid0(VALU_DEP_2)
	v_add_nc_u64_e32 v[6:7], s[12:13], v[6:7]
	s_wait_loadcnt 0x0
	v_sub_nc_u64_e64 v[8:9], v[12:13], s[18:19]
	v_sub_nc_u64_e64 v[10:11], v[14:15], s[18:19]
	v_cmp_lt_i64_e64 s1, v[12:13], v[14:15]
	v_add_nc_u64_e32 v[12:13], s[8:9], v[18:19]
	v_lshl_add_u64 v[14:15], v[16:17], 3, s[12:13]
	s_cselect_b32 s18, 8, 16
	s_mov_b32 s8, s19
	s_branch .LBB40_9
.LBB40_8:                               ;   in Loop: Header=BB40_9 Depth=1
	s_wait_xcnt 0x0
	s_or_b32 exec_lo, exec_lo, s2
	s_add_co_i32 s8, s8, 64
	s_delay_alu instid0(SALU_CYCLE_1)
	s_cmp_lt_i32 s8, s22
	s_cbranch_scc0 .LBB40_29
.LBB40_9:                               ; =>This Loop Header: Depth=1
                                        ;     Child Loop BB40_12 Depth 2
                                        ;       Child Loop BB40_16 Depth 3
	v_or_b32_e32 v16, s8, v0
	v_mov_b64_e32 v[18:19], 0
	s_delay_alu instid0(VALU_DEP_2)
	v_ashrrev_i32_e32 v17, 31, v16
	s_and_saveexec_b32 s9, s1
	s_cbranch_execz .LBB40_18
; %bb.10:                               ;   in Loop: Header=BB40_9 Depth=1
	v_mov_b64_e32 v[18:19], 0
	v_mov_b64_e32 v[22:23], v[8:9]
	v_lshl_add_u64 v[20:21], v[16:17], 3, s[10:11]
	s_mov_b32 s12, 0
	v_cmp_gt_i32_e32 vcc_lo, s22, v16
	s_branch .LBB40_12
.LBB40_11:                              ;   in Loop: Header=BB40_12 Depth=2
	s_or_b32 exec_lo, exec_lo, s2
	v_add_nc_u64_e32 v[22:23], 64, v[22:23]
	s_delay_alu instid0(VALU_DEP_1) | instskip(SKIP_1) | instid1(SALU_CYCLE_1)
	v_cmp_ge_i64_e64 s2, v[22:23], v[10:11]
	s_or_b32 s12, s2, s12
	s_and_not1_b32 exec_lo, exec_lo, s12
	s_cbranch_execz .LBB40_17
.LBB40_12:                              ;   Parent Loop BB40_9 Depth=1
                                        ; =>  This Loop Header: Depth=2
                                        ;       Child Loop BB40_16 Depth 3
	s_delay_alu instid0(VALU_DEP_3) | instskip(SKIP_4) | instid1(VALU_DEP_4)
	v_add_nc_u64_e32 v[28:29], v[22:23], v[0:1]
	v_mov_b64_e32 v[24:25], 0
	v_mov_b64_e32 v[26:27], 0
	v_mov_b32_e32 v32, 0
	s_mov_b32 s13, exec_lo
	v_cmpx_lt_i64_e64 v[28:29], v[10:11]
	s_cbranch_execz .LBB40_14
; %bb.13:                               ;   in Loop: Header=BB40_12 Depth=2
	v_lshlrev_b64_e32 v[24:25], 5, v[28:29]
	v_lshl_add_u64 v[26:27], v[28:29], 2, s[6:7]
	global_load_b32 v34, v[26:27], off
	v_add_nc_u64_e32 v[28:29], v[12:13], v[24:25]
	s_delay_alu instid0(VALU_DEP_1)
	v_add_nc_u64_e32 v[32:33], s[18:19], v[28:29]
	s_clause 0x1
	global_load_b64 v[24:25], v[28:29], off
	global_load_b64 v[26:27], v[32:33], off
	s_wait_loadcnt 0x2
	s_wait_xcnt 0x1
	v_subrev_nc_u32_e32 v28, s17, v34
	s_wait_xcnt 0x0
	s_delay_alu instid0(VALU_DEP_1)
	v_lshlrev_b32_e32 v32, 1, v28
.LBB40_14:                              ;   in Loop: Header=BB40_12 Depth=2
	s_or_b32 exec_lo, exec_lo, s13
	ds_store_b32 v30, v32
	s_wait_loadcnt 0x0
	ds_store_2addr_b64 v31, v[24:25], v[26:27] offset1:1
	s_wait_dscnt 0x0
	s_barrier_signal -1
	s_barrier_wait -1
	s_and_saveexec_b32 s2, vcc_lo
	s_cbranch_execz .LBB40_11
; %bb.15:                               ;   in Loop: Header=BB40_12 Depth=2
	v_mov_b32_e32 v24, 0
	s_mov_b32 s13, 0
.LBB40_16:                              ;   Parent Loop BB40_9 Depth=1
                                        ;     Parent Loop BB40_12 Depth=2
                                        ; =>    This Inner Loop Header: Depth=3
	s_delay_alu instid0(SALU_CYCLE_1) | instskip(SKIP_1) | instid1(SALU_CYCLE_1)
	v_add_nc_u32_e64 v25, 0x600, s13
	s_add_co_i32 s13, s13, 8
	s_cmp_lg_u32 s13, 0x100
	ds_load_b64 v[26:27], v25
	s_wait_dscnt 0x0
	v_dual_mov_b32 v28, v26 :: v_dual_ashrrev_i32 v29, 31, v26
	v_dual_add_nc_u32 v32, 1, v26 :: v_dual_add_nc_u32 v26, 1, v27
	s_wait_kmcnt 0x0
	s_delay_alu instid0(VALU_DEP_2) | instskip(NEXT) | instid1(VALU_DEP_2)
	v_mul_u64_e32 v[28:29], s[4:5], v[28:29]
	v_ashrrev_i32_e32 v33, 31, v32
	s_delay_alu instid0(VALU_DEP_1) | instskip(NEXT) | instid1(VALU_DEP_3)
	v_mul_u64_e32 v[32:33], s[4:5], v[32:33]
	v_lshl_add_u64 v[28:29], v[28:29], 3, v[20:21]
	global_load_b64 v[36:37], v[28:29], off
	v_lshl_add_u64 v[32:33], v[32:33], 3, v[20:21]
	global_load_b64 v[38:39], v[32:33], off
	s_wait_xcnt 0x1
	v_dual_mov_b32 v28, v27 :: v_dual_ashrrev_i32 v29, 31, v27
	v_ashrrev_i32_e32 v27, 31, v26
	s_delay_alu instid0(VALU_DEP_2) | instskip(NEXT) | instid1(VALU_DEP_2)
	v_mul_u64_e32 v[28:29], s[4:5], v[28:29]
	v_mul_u64_e32 v[26:27], s[4:5], v[26:27]
	s_delay_alu instid0(VALU_DEP_2) | instskip(NEXT) | instid1(VALU_DEP_2)
	v_lshl_add_u64 v[28:29], v[28:29], 3, v[20:21]
	v_lshl_add_u64 v[26:27], v[26:27], 3, v[20:21]
	s_clause 0x1
	global_load_b64 v[40:41], v[28:29], off
	global_load_b64 v[42:43], v[26:27], off
	s_wait_xcnt 0x0
	ds_load_b128 v[26:29], v24
	ds_load_2addr_b64 v[32:35], v24 offset0:3 offset1:4
	v_add_nc_u32_e32 v24, 48, v24
	s_wait_loadcnt_dscnt 0x301
	v_fmac_f64_e32 v[18:19], v[26:27], v[36:37]
	s_wait_loadcnt 0x2
	s_delay_alu instid0(VALU_DEP_1) | instskip(SKIP_1) | instid1(VALU_DEP_1)
	v_fmac_f64_e32 v[18:19], v[28:29], v[38:39]
	s_wait_loadcnt_dscnt 0x100
	v_fmac_f64_e32 v[18:19], v[32:33], v[40:41]
	s_wait_loadcnt 0x0
	s_delay_alu instid0(VALU_DEP_1)
	v_fmac_f64_e32 v[18:19], v[34:35], v[42:43]
	s_cbranch_scc1 .LBB40_16
	s_branch .LBB40_11
.LBB40_17:                              ;   in Loop: Header=BB40_9 Depth=1
	s_or_b32 exec_lo, exec_lo, s12
.LBB40_18:                              ;   in Loop: Header=BB40_9 Depth=1
	s_delay_alu instid0(SALU_CYCLE_1) | instskip(NEXT) | instid1(SALU_CYCLE_1)
	s_or_b32 exec_lo, exec_lo, s9
	s_mov_b32 s2, exec_lo
	v_cmpx_gt_i32_e64 s22, v16
	s_cbranch_execz .LBB40_8
; %bb.19:                               ;   in Loop: Header=BB40_9 Depth=1
	s_and_saveexec_b32 s9, s0
	s_delay_alu instid0(SALU_CYCLE_1)
	s_xor_b32 s9, exec_lo, s9
	s_cbranch_execz .LBB40_24
; %bb.20:                               ;   in Loop: Header=BB40_9 Depth=1
	s_and_b32 vcc_lo, exec_lo, s3
	s_mov_b32 s12, -1
	s_cbranch_vccz .LBB40_22
; %bb.21:                               ;   in Loop: Header=BB40_9 Depth=1
	v_lshl_add_u64 v[20:21], v[16:17], 3, v[14:15]
	v_mul_f64_e32 v[24:25], v[2:3], v[18:19]
	s_mov_b32 s12, 0
	global_load_b64 v[22:23], v[20:21], off
	s_wait_loadcnt 0x0
	v_fmac_f64_e32 v[24:25], v[4:5], v[22:23]
	global_store_b64 v[20:21], v[24:25], off
.LBB40_22:                              ;   in Loop: Header=BB40_9 Depth=1
	s_and_not1_b32 vcc_lo, exec_lo, s12
	s_cbranch_vccnz .LBB40_24
; %bb.23:                               ;   in Loop: Header=BB40_9 Depth=1
	v_mul_u64_e32 v[16:17], s[14:15], v[16:17]
	v_mul_f64_e32 v[18:19], v[2:3], v[18:19]
	s_delay_alu instid0(VALU_DEP_2)
	v_lshl_add_u64 v[16:17], v[16:17], 3, v[6:7]
	global_load_b64 v[20:21], v[16:17], off
	s_wait_loadcnt 0x0
	v_fmac_f64_e32 v[18:19], v[4:5], v[20:21]
	global_store_b64 v[16:17], v[18:19], off
                                        ; implicit-def: $vgpr18_vgpr19
                                        ; implicit-def: $vgpr16
.LBB40_24:                              ;   in Loop: Header=BB40_9 Depth=1
	s_wait_xcnt 0x0
	s_and_not1_saveexec_b32 s9, s9
	s_cbranch_execz .LBB40_8
; %bb.25:                               ;   in Loop: Header=BB40_9 Depth=1
	v_mul_f64_e32 v[18:19], v[2:3], v[18:19]
	s_and_b32 vcc_lo, exec_lo, s3
	s_mov_b32 s9, -1
	s_cbranch_vccz .LBB40_27
; %bb.26:                               ;   in Loop: Header=BB40_9 Depth=1
	v_lshl_add_u64 v[20:21], v[16:17], 3, v[14:15]
	s_mov_b32 s9, 0
	global_store_b64 v[20:21], v[18:19], off
.LBB40_27:                              ;   in Loop: Header=BB40_9 Depth=1
	s_and_not1_b32 vcc_lo, exec_lo, s9
	s_cbranch_vccnz .LBB40_8
; %bb.28:                               ;   in Loop: Header=BB40_9 Depth=1
	v_mul_u64_e32 v[16:17], s[14:15], v[16:17]
	s_delay_alu instid0(VALU_DEP_1)
	v_lshl_add_u64 v[16:17], v[16:17], 3, v[6:7]
	global_store_b64 v[16:17], v[18:19], off
	s_branch .LBB40_8
.LBB40_29:
	s_endpgm
	.section	.rodata,"a",@progbits
	.p2align	6, 0x0
	.amdhsa_kernel _ZN9rocsparseL29bsrmmnt_small_blockdim_kernelILj64ELj64ELj2EliddddEEv20rocsparse_direction_T3_S2_llNS_24const_host_device_scalarIT7_EEPKT2_PKS2_PKT4_PKT5_llS5_PT6_ll16rocsparse_order_21rocsparse_index_base_b
		.amdhsa_group_segment_fixed_size 1792
		.amdhsa_private_segment_fixed_size 0
		.amdhsa_kernarg_size 392
		.amdhsa_user_sgpr_count 2
		.amdhsa_user_sgpr_dispatch_ptr 0
		.amdhsa_user_sgpr_queue_ptr 0
		.amdhsa_user_sgpr_kernarg_segment_ptr 1
		.amdhsa_user_sgpr_dispatch_id 0
		.amdhsa_user_sgpr_kernarg_preload_length 0
		.amdhsa_user_sgpr_kernarg_preload_offset 0
		.amdhsa_user_sgpr_private_segment_size 0
		.amdhsa_wavefront_size32 1
		.amdhsa_uses_dynamic_stack 0
		.amdhsa_enable_private_segment 0
		.amdhsa_system_sgpr_workgroup_id_x 1
		.amdhsa_system_sgpr_workgroup_id_y 0
		.amdhsa_system_sgpr_workgroup_id_z 0
		.amdhsa_system_sgpr_workgroup_info 0
		.amdhsa_system_vgpr_workitem_id 0
		.amdhsa_next_free_vgpr 44
		.amdhsa_next_free_sgpr 23
		.amdhsa_named_barrier_count 0
		.amdhsa_reserve_vcc 1
		.amdhsa_float_round_mode_32 0
		.amdhsa_float_round_mode_16_64 0
		.amdhsa_float_denorm_mode_32 3
		.amdhsa_float_denorm_mode_16_64 3
		.amdhsa_fp16_overflow 0
		.amdhsa_memory_ordered 1
		.amdhsa_forward_progress 1
		.amdhsa_inst_pref_size 11
		.amdhsa_round_robin_scheduling 0
		.amdhsa_exception_fp_ieee_invalid_op 0
		.amdhsa_exception_fp_denorm_src 0
		.amdhsa_exception_fp_ieee_div_zero 0
		.amdhsa_exception_fp_ieee_overflow 0
		.amdhsa_exception_fp_ieee_underflow 0
		.amdhsa_exception_fp_ieee_inexact 0
		.amdhsa_exception_int_div_zero 0
	.end_amdhsa_kernel
	.section	.text._ZN9rocsparseL29bsrmmnt_small_blockdim_kernelILj64ELj64ELj2EliddddEEv20rocsparse_direction_T3_S2_llNS_24const_host_device_scalarIT7_EEPKT2_PKS2_PKT4_PKT5_llS5_PT6_ll16rocsparse_order_21rocsparse_index_base_b,"axG",@progbits,_ZN9rocsparseL29bsrmmnt_small_blockdim_kernelILj64ELj64ELj2EliddddEEv20rocsparse_direction_T3_S2_llNS_24const_host_device_scalarIT7_EEPKT2_PKS2_PKT4_PKT5_llS5_PT6_ll16rocsparse_order_21rocsparse_index_base_b,comdat
.Lfunc_end40:
	.size	_ZN9rocsparseL29bsrmmnt_small_blockdim_kernelILj64ELj64ELj2EliddddEEv20rocsparse_direction_T3_S2_llNS_24const_host_device_scalarIT7_EEPKT2_PKS2_PKT4_PKT5_llS5_PT6_ll16rocsparse_order_21rocsparse_index_base_b, .Lfunc_end40-_ZN9rocsparseL29bsrmmnt_small_blockdim_kernelILj64ELj64ELj2EliddddEEv20rocsparse_direction_T3_S2_llNS_24const_host_device_scalarIT7_EEPKT2_PKS2_PKT4_PKT5_llS5_PT6_ll16rocsparse_order_21rocsparse_index_base_b
                                        ; -- End function
	.set _ZN9rocsparseL29bsrmmnt_small_blockdim_kernelILj64ELj64ELj2EliddddEEv20rocsparse_direction_T3_S2_llNS_24const_host_device_scalarIT7_EEPKT2_PKS2_PKT4_PKT5_llS5_PT6_ll16rocsparse_order_21rocsparse_index_base_b.num_vgpr, 44
	.set _ZN9rocsparseL29bsrmmnt_small_blockdim_kernelILj64ELj64ELj2EliddddEEv20rocsparse_direction_T3_S2_llNS_24const_host_device_scalarIT7_EEPKT2_PKS2_PKT4_PKT5_llS5_PT6_ll16rocsparse_order_21rocsparse_index_base_b.num_agpr, 0
	.set _ZN9rocsparseL29bsrmmnt_small_blockdim_kernelILj64ELj64ELj2EliddddEEv20rocsparse_direction_T3_S2_llNS_24const_host_device_scalarIT7_EEPKT2_PKS2_PKT4_PKT5_llS5_PT6_ll16rocsparse_order_21rocsparse_index_base_b.numbered_sgpr, 23
	.set _ZN9rocsparseL29bsrmmnt_small_blockdim_kernelILj64ELj64ELj2EliddddEEv20rocsparse_direction_T3_S2_llNS_24const_host_device_scalarIT7_EEPKT2_PKS2_PKT4_PKT5_llS5_PT6_ll16rocsparse_order_21rocsparse_index_base_b.num_named_barrier, 0
	.set _ZN9rocsparseL29bsrmmnt_small_blockdim_kernelILj64ELj64ELj2EliddddEEv20rocsparse_direction_T3_S2_llNS_24const_host_device_scalarIT7_EEPKT2_PKS2_PKT4_PKT5_llS5_PT6_ll16rocsparse_order_21rocsparse_index_base_b.private_seg_size, 0
	.set _ZN9rocsparseL29bsrmmnt_small_blockdim_kernelILj64ELj64ELj2EliddddEEv20rocsparse_direction_T3_S2_llNS_24const_host_device_scalarIT7_EEPKT2_PKS2_PKT4_PKT5_llS5_PT6_ll16rocsparse_order_21rocsparse_index_base_b.uses_vcc, 1
	.set _ZN9rocsparseL29bsrmmnt_small_blockdim_kernelILj64ELj64ELj2EliddddEEv20rocsparse_direction_T3_S2_llNS_24const_host_device_scalarIT7_EEPKT2_PKS2_PKT4_PKT5_llS5_PT6_ll16rocsparse_order_21rocsparse_index_base_b.uses_flat_scratch, 0
	.set _ZN9rocsparseL29bsrmmnt_small_blockdim_kernelILj64ELj64ELj2EliddddEEv20rocsparse_direction_T3_S2_llNS_24const_host_device_scalarIT7_EEPKT2_PKS2_PKT4_PKT5_llS5_PT6_ll16rocsparse_order_21rocsparse_index_base_b.has_dyn_sized_stack, 0
	.set _ZN9rocsparseL29bsrmmnt_small_blockdim_kernelILj64ELj64ELj2EliddddEEv20rocsparse_direction_T3_S2_llNS_24const_host_device_scalarIT7_EEPKT2_PKS2_PKT4_PKT5_llS5_PT6_ll16rocsparse_order_21rocsparse_index_base_b.has_recursion, 0
	.set _ZN9rocsparseL29bsrmmnt_small_blockdim_kernelILj64ELj64ELj2EliddddEEv20rocsparse_direction_T3_S2_llNS_24const_host_device_scalarIT7_EEPKT2_PKS2_PKT4_PKT5_llS5_PT6_ll16rocsparse_order_21rocsparse_index_base_b.has_indirect_call, 0
	.section	.AMDGPU.csdata,"",@progbits
; Kernel info:
; codeLenInByte = 1296
; TotalNumSgprs: 25
; NumVgprs: 44
; ScratchSize: 0
; MemoryBound: 0
; FloatMode: 240
; IeeeMode: 1
; LDSByteSize: 1792 bytes/workgroup (compile time only)
; SGPRBlocks: 0
; VGPRBlocks: 2
; NumSGPRsForWavesPerEU: 25
; NumVGPRsForWavesPerEU: 44
; NamedBarCnt: 0
; Occupancy: 16
; WaveLimiterHint : 1
; COMPUTE_PGM_RSRC2:SCRATCH_EN: 0
; COMPUTE_PGM_RSRC2:USER_SGPR: 2
; COMPUTE_PGM_RSRC2:TRAP_HANDLER: 0
; COMPUTE_PGM_RSRC2:TGID_X_EN: 1
; COMPUTE_PGM_RSRC2:TGID_Y_EN: 0
; COMPUTE_PGM_RSRC2:TGID_Z_EN: 0
; COMPUTE_PGM_RSRC2:TIDIG_COMP_CNT: 0
	.section	.text._ZN9rocsparseL29bsrmmnt_small_blockdim_kernelILj64ELj8ELj2EllddddEEv20rocsparse_direction_T3_S2_llNS_24const_host_device_scalarIT7_EEPKT2_PKS2_PKT4_PKT5_llS5_PT6_ll16rocsparse_order_21rocsparse_index_base_b,"axG",@progbits,_ZN9rocsparseL29bsrmmnt_small_blockdim_kernelILj64ELj8ELj2EllddddEEv20rocsparse_direction_T3_S2_llNS_24const_host_device_scalarIT7_EEPKT2_PKS2_PKT4_PKT5_llS5_PT6_ll16rocsparse_order_21rocsparse_index_base_b,comdat
	.globl	_ZN9rocsparseL29bsrmmnt_small_blockdim_kernelILj64ELj8ELj2EllddddEEv20rocsparse_direction_T3_S2_llNS_24const_host_device_scalarIT7_EEPKT2_PKS2_PKT4_PKT5_llS5_PT6_ll16rocsparse_order_21rocsparse_index_base_b ; -- Begin function _ZN9rocsparseL29bsrmmnt_small_blockdim_kernelILj64ELj8ELj2EllddddEEv20rocsparse_direction_T3_S2_llNS_24const_host_device_scalarIT7_EEPKT2_PKS2_PKT4_PKT5_llS5_PT6_ll16rocsparse_order_21rocsparse_index_base_b
	.p2align	8
	.type	_ZN9rocsparseL29bsrmmnt_small_blockdim_kernelILj64ELj8ELj2EllddddEEv20rocsparse_direction_T3_S2_llNS_24const_host_device_scalarIT7_EEPKT2_PKS2_PKT4_PKT5_llS5_PT6_ll16rocsparse_order_21rocsparse_index_base_b,@function
_ZN9rocsparseL29bsrmmnt_small_blockdim_kernelILj64ELj8ELj2EllddddEEv20rocsparse_direction_T3_S2_llNS_24const_host_device_scalarIT7_EEPKT2_PKS2_PKT4_PKT5_llS5_PT6_ll16rocsparse_order_21rocsparse_index_base_b: ; @_ZN9rocsparseL29bsrmmnt_small_blockdim_kernelILj64ELj8ELj2EllddddEEv20rocsparse_direction_T3_S2_llNS_24const_host_device_scalarIT7_EEPKT2_PKS2_PKT4_PKT5_llS5_PT6_ll16rocsparse_order_21rocsparse_index_base_b
; %bb.0:
	s_clause 0x2
	s_load_b96 s[20:22], s[0:1], 0x80
	s_load_b64 s[4:5], s[0:1], 0x28
	s_load_b64 s[2:3], s[0:1], 0x60
	s_wait_kmcnt 0x0
	s_bitcmp1_b32 s22, 0
	v_mov_b64_e32 v[2:3], s[4:5]
	s_cselect_b32 s6, -1, 0
	s_delay_alu instid0(SALU_CYCLE_1)
	s_and_b32 vcc_lo, exec_lo, s6
	s_xor_b32 s6, s6, -1
	s_cbranch_vccnz .LBB41_2
; %bb.1:
	v_mov_b32_e32 v1, 0
	flat_load_b64 v[2:3], v1, s[4:5]
.LBB41_2:
	v_mov_b64_e32 v[4:5], s[2:3]
	s_and_not1_b32 vcc_lo, exec_lo, s6
	s_cbranch_vccnz .LBB41_4
; %bb.3:
	s_wait_xcnt 0x0
	v_mov_b32_e32 v1, 0
	flat_load_b64 v[4:5], v1, s[2:3]
.LBB41_4:
	s_wait_loadcnt_dscnt 0x0
	v_cmp_neq_f64_e32 vcc_lo, 0, v[2:3]
	s_delay_alu instid0(VALU_DEP_2) | instskip(SKIP_1) | instid1(SALU_CYCLE_1)
	v_cmp_neq_f64_e64 s2, 1.0, v[4:5]
	s_or_b32 s2, vcc_lo, s2
	s_and_saveexec_b32 s3, s2
	s_cbranch_execz .LBB41_29
; %bb.5:
	s_clause 0x1
	s_load_b32 s2, s[0:1], 0x9c
	s_load_b128 s[12:15], s[0:1], 0x8
	s_bfe_u32 s3, ttmp6, 0x4000c
	s_and_b32 s4, ttmp6, 15
	s_add_co_i32 s3, s3, 1
	s_getreg_b32 s5, hwreg(HW_REG_IB_STS2, 6, 4)
	s_mul_i32 s3, ttmp9, s3
	s_delay_alu instid0(SALU_CYCLE_1) | instskip(SKIP_4) | instid1(SALU_CYCLE_1)
	s_add_co_i32 s4, s4, s3
	s_wait_kmcnt 0x0
	s_and_b32 s2, s2, 0xffff
	s_cmp_eq_u32 s5, 0
	s_cselect_b32 s3, ttmp9, s4
	v_mad_u32 v1, s3, s2, v0
	s_delay_alu instid0(VALU_DEP_1) | instskip(NEXT) | instid1(VALU_DEP_1)
	v_dual_mov_b32 v7, 0 :: v_dual_lshrrev_b32 v6, 4, v1
	v_cmp_gt_i64_e32 vcc_lo, s[12:13], v[6:7]
	s_and_b32 exec_lo, exec_lo, vcc_lo
	s_cbranch_execz .LBB41_29
; %bb.6:
	v_cmp_lt_i64_e64 s2, s[14:15], 1
	s_and_b32 vcc_lo, exec_lo, s2
	s_cbranch_vccnz .LBB41_29
; %bb.7:
	s_load_b256 s[4:11], s[0:1], 0x30
	v_dual_lshlrev_b32 v6, 3, v6 :: v_dual_lshrrev_b32 v8, 3, v1
	s_load_b128 s[16:19], s[0:1], 0x68
	v_dual_mov_b32 v9, 0 :: v_dual_bitop2_b32 v12, 8, v1 bitop3:0x40
	s_cmp_lg_u32 s20, 1
	s_mov_b32 s13, 0
	s_cselect_b32 s3, -1, 0
	s_delay_alu instid0(VALU_DEP_1)
	v_mov_b32_e32 v13, v9
	s_mov_b32 s12, s21
	v_mov_b32_e32 v7, v9
	s_wait_kmcnt 0x0
	global_load_b128 v[16:19], v6, s[4:5]
	s_wait_xcnt 0x0
	s_load_b64 s[4:5], s[0:1], 0x50
	v_and_b32_e32 v6, 7, v0
	v_mul_u64_e32 v[10:11], s[18:19], v[8:9]
	s_wait_xcnt 0x0
	s_load_b32 s1, s[0:1], 0x0
	s_wait_xcnt 0x0
	v_cmp_neq_f64_e64 s0, 0, v[4:5]
	v_add_nc_u64_e32 v[20:21], s[8:9], v[12:13]
	v_lshrrev_b32_e32 v0, 3, v0
	v_mul_u32_u24_e32 v24, 24, v6
	s_mov_b64 s[8:9], 0
	s_delay_alu instid0(VALU_DEP_2) | instskip(NEXT) | instid1(VALU_DEP_4)
	v_lshl_or_b32 v32, v0, 6, 0x600
	v_add_nc_u64_e32 v[22:23], v[20:21], v[12:13]
	v_mul_u32_u24_e32 v33, 0xc0, v0
	s_delay_alu instid0(VALU_DEP_3) | instskip(NEXT) | instid1(VALU_DEP_2)
	v_lshl_or_b32 v34, v6, 3, v32
	v_add_nc_u32_e32 v35, v33, v24
	s_wait_kmcnt 0x0
	s_cmp_eq_u32 s1, 0
	s_cselect_b32 vcc_lo, -1, 0
	v_and_b32_e32 v8, -8, v1
	s_and_b32 s2, vcc_lo, exec_lo
	s_delay_alu instid0(VALU_DEP_1)
	v_add_nc_u64_e32 v[0:1], s[16:17], v[8:9]
	v_dual_cndmask_b32 v9, v21, v23 :: v_dual_cndmask_b32 v8, v20, v22
	v_lshl_add_u64 v[10:11], v[10:11], 3, s[16:17]
	s_cselect_b32 s16, 8, 16
	s_mov_b32 s17, s13
	s_lshl_b64 s[20:21], s[4:5], 3
	s_wait_loadcnt 0x0
	v_sub_nc_u64_e64 v[12:13], v[16:17], s[12:13]
	v_sub_nc_u64_e64 v[14:15], v[18:19], s[12:13]
	v_cmp_lt_i64_e64 s1, v[16:17], v[18:19]
	s_branch .LBB41_9
.LBB41_8:                               ;   in Loop: Header=BB41_9 Depth=1
	s_wait_xcnt 0x0
	s_or_b32 exec_lo, exec_lo, s2
	s_add_nc_u64 s[8:9], s[8:9], 8
	s_delay_alu instid0(SALU_CYCLE_1)
	v_cmp_lt_i64_e64 s2, s[8:9], s[14:15]
	s_and_b32 vcc_lo, exec_lo, s2
	s_cbranch_vccz .LBB41_29
.LBB41_9:                               ; =>This Loop Header: Depth=1
                                        ;     Child Loop BB41_12 Depth 2
                                        ;       Child Loop BB41_16 Depth 3
	v_mov_b64_e32 v[18:19], 0
	v_dual_mov_b32 v17, s9 :: v_dual_bitop2_b32 v16, s8, v6 bitop3:0x54
	s_delay_alu instid0(VALU_DEP_3)
	s_and_saveexec_b32 s22, s1
	s_cbranch_execz .LBB41_18
; %bb.10:                               ;   in Loop: Header=BB41_9 Depth=1
	v_mov_b64_e32 v[18:19], 0
	v_mov_b64_e32 v[22:23], v[12:13]
	v_lshl_add_u64 v[20:21], v[16:17], 3, s[10:11]
	s_mov_b32 s23, 0
	v_cmp_gt_i64_e32 vcc_lo, s[14:15], v[16:17]
	s_branch .LBB41_12
.LBB41_11:                              ;   in Loop: Header=BB41_12 Depth=2
	s_or_b32 exec_lo, exec_lo, s2
	v_add_nc_u64_e32 v[22:23], 8, v[22:23]
	s_delay_alu instid0(VALU_DEP_1) | instskip(SKIP_1) | instid1(SALU_CYCLE_1)
	v_cmp_ge_i64_e64 s2, v[22:23], v[14:15]
	s_or_b32 s23, s2, s23
	s_and_not1_b32 exec_lo, exec_lo, s23
	s_cbranch_execz .LBB41_17
.LBB41_12:                              ;   Parent Loop BB41_9 Depth=1
                                        ; =>  This Loop Header: Depth=2
                                        ;       Child Loop BB41_16 Depth 3
	s_delay_alu instid0(VALU_DEP_3) | instskip(SKIP_4) | instid1(VALU_DEP_4)
	v_add_nc_u64_e32 v[30:31], v[22:23], v[6:7]
	v_mov_b64_e32 v[28:29], 0
	v_mov_b64_e32 v[24:25], 0
	;; [unrolled: 1-line block ×3, first 2 shown]
	s_mov_b32 s24, exec_lo
	v_cmpx_lt_i64_e64 v[30:31], v[14:15]
	s_cbranch_execz .LBB41_14
; %bb.13:                               ;   in Loop: Header=BB41_12 Depth=2
	v_lshlrev_b64_e32 v[24:25], 5, v[30:31]
	v_lshl_add_u64 v[26:27], v[30:31], 3, s[6:7]
	global_load_b64 v[28:29], v[26:27], off
	v_add_nc_u64_e32 v[30:31], v[8:9], v[24:25]
	s_delay_alu instid0(VALU_DEP_1)
	v_add_nc_u64_e32 v[36:37], s[16:17], v[30:31]
	s_clause 0x1
	global_load_b64 v[24:25], v[30:31], off
	global_load_b64 v[26:27], v[36:37], off
	s_wait_loadcnt 0x2
	v_sub_nc_u64_e64 v[28:29], v[28:29], s[12:13]
	s_delay_alu instid0(VALU_DEP_1)
	v_lshlrev_b64_e32 v[28:29], 1, v[28:29]
.LBB41_14:                              ;   in Loop: Header=BB41_12 Depth=2
	s_wait_xcnt 0x0
	s_or_b32 exec_lo, exec_lo, s24
	ds_store_b64 v34, v[28:29]
	s_wait_loadcnt 0x0
	ds_store_2addr_b64 v35, v[24:25], v[26:27] offset1:1
	s_wait_dscnt 0x0
	s_barrier_signal -1
	s_barrier_wait -1
	s_and_saveexec_b32 s2, vcc_lo
	s_cbranch_execz .LBB41_11
; %bb.15:                               ;   in Loop: Header=BB41_12 Depth=2
	v_mov_b32_e32 v24, v33
	s_mov_b32 s24, 0
.LBB41_16:                              ;   Parent Loop BB41_9 Depth=1
                                        ;     Parent Loop BB41_12 Depth=2
                                        ; =>    This Inner Loop Header: Depth=3
	s_delay_alu instid0(SALU_CYCLE_1) | instskip(SKIP_1) | instid1(SALU_CYCLE_1)
	v_add_nc_u32_e32 v25, s24, v32
	s_add_co_i32 s24, s24, 16
	s_cmp_lg_u32 s24, 64
	ds_load_b128 v[26:29], v25
	s_wait_dscnt 0x0
	v_mul_u64_e32 v[26:27], s[4:5], v[26:27]
	v_mul_u64_e32 v[28:29], s[4:5], v[28:29]
	s_delay_alu instid0(VALU_DEP_2)
	v_lshl_add_u64 v[26:27], v[26:27], 3, v[20:21]
	global_load_b64 v[30:31], v[26:27], off
	s_wait_xcnt 0x0
	v_add_nc_u64_e32 v[26:27], s[20:21], v[26:27]
	global_load_b64 v[40:41], v[26:27], off
	s_wait_xcnt 0x0
	v_lshl_add_u64 v[26:27], v[28:29], 3, v[20:21]
	global_load_b64 v[42:43], v[26:27], off
	s_wait_xcnt 0x0
	v_add_nc_u64_e32 v[26:27], s[20:21], v[26:27]
	global_load_b64 v[44:45], v[26:27], off
	s_wait_xcnt 0x0
	ds_load_b128 v[26:29], v24
	ds_load_2addr_b64 v[36:39], v24 offset0:3 offset1:4
	v_add_nc_u32_e32 v24, 48, v24
	s_wait_loadcnt_dscnt 0x301
	v_fmac_f64_e32 v[18:19], v[26:27], v[30:31]
	s_wait_loadcnt 0x2
	s_delay_alu instid0(VALU_DEP_1) | instskip(SKIP_1) | instid1(VALU_DEP_1)
	v_fmac_f64_e32 v[18:19], v[28:29], v[40:41]
	s_wait_loadcnt_dscnt 0x100
	v_fmac_f64_e32 v[18:19], v[36:37], v[42:43]
	s_wait_loadcnt 0x0
	s_delay_alu instid0(VALU_DEP_1)
	v_fmac_f64_e32 v[18:19], v[38:39], v[44:45]
	s_cbranch_scc1 .LBB41_16
	s_branch .LBB41_11
.LBB41_17:                              ;   in Loop: Header=BB41_9 Depth=1
	s_or_b32 exec_lo, exec_lo, s23
.LBB41_18:                              ;   in Loop: Header=BB41_9 Depth=1
	s_delay_alu instid0(SALU_CYCLE_1) | instskip(NEXT) | instid1(SALU_CYCLE_1)
	s_or_b32 exec_lo, exec_lo, s22
	s_mov_b32 s2, exec_lo
	v_cmpx_gt_i64_e64 s[14:15], v[16:17]
	s_cbranch_execz .LBB41_8
; %bb.19:                               ;   in Loop: Header=BB41_9 Depth=1
	s_and_saveexec_b32 s22, s0
	s_delay_alu instid0(SALU_CYCLE_1)
	s_xor_b32 s22, exec_lo, s22
	s_cbranch_execz .LBB41_24
; %bb.20:                               ;   in Loop: Header=BB41_9 Depth=1
	s_and_b32 vcc_lo, exec_lo, s3
	s_mov_b32 s23, -1
	s_cbranch_vccz .LBB41_22
; %bb.21:                               ;   in Loop: Header=BB41_9 Depth=1
	v_lshl_add_u64 v[20:21], v[16:17], 3, v[10:11]
	v_mul_f64_e32 v[24:25], v[2:3], v[18:19]
	s_mov_b32 s23, 0
	global_load_b64 v[22:23], v[20:21], off
	s_wait_loadcnt 0x0
	v_fmac_f64_e32 v[24:25], v[4:5], v[22:23]
	global_store_b64 v[20:21], v[24:25], off
.LBB41_22:                              ;   in Loop: Header=BB41_9 Depth=1
	s_and_not1_b32 vcc_lo, exec_lo, s23
	s_cbranch_vccnz .LBB41_24
; %bb.23:                               ;   in Loop: Header=BB41_9 Depth=1
	v_mul_u64_e32 v[16:17], s[18:19], v[16:17]
	v_mul_f64_e32 v[18:19], v[2:3], v[18:19]
	s_delay_alu instid0(VALU_DEP_2)
	v_lshl_add_u64 v[16:17], v[16:17], 3, v[0:1]
	global_load_b64 v[20:21], v[16:17], off
	s_wait_loadcnt 0x0
	v_fmac_f64_e32 v[18:19], v[4:5], v[20:21]
	global_store_b64 v[16:17], v[18:19], off
                                        ; implicit-def: $vgpr16_vgpr17
                                        ; implicit-def: $vgpr18_vgpr19
.LBB41_24:                              ;   in Loop: Header=BB41_9 Depth=1
	s_wait_xcnt 0x0
	s_and_not1_saveexec_b32 s22, s22
	s_cbranch_execz .LBB41_8
; %bb.25:                               ;   in Loop: Header=BB41_9 Depth=1
	v_mul_f64_e32 v[18:19], v[2:3], v[18:19]
	s_and_b32 vcc_lo, exec_lo, s3
	s_mov_b32 s22, -1
	s_cbranch_vccz .LBB41_27
; %bb.26:                               ;   in Loop: Header=BB41_9 Depth=1
	v_lshl_add_u64 v[20:21], v[16:17], 3, v[10:11]
	s_mov_b32 s22, 0
	global_store_b64 v[20:21], v[18:19], off
.LBB41_27:                              ;   in Loop: Header=BB41_9 Depth=1
	s_and_not1_b32 vcc_lo, exec_lo, s22
	s_cbranch_vccnz .LBB41_8
; %bb.28:                               ;   in Loop: Header=BB41_9 Depth=1
	v_mul_u64_e32 v[16:17], s[18:19], v[16:17]
	s_delay_alu instid0(VALU_DEP_1)
	v_lshl_add_u64 v[16:17], v[16:17], 3, v[0:1]
	global_store_b64 v[16:17], v[18:19], off
	s_branch .LBB41_8
.LBB41_29:
	s_endpgm
	.section	.rodata,"a",@progbits
	.p2align	6, 0x0
	.amdhsa_kernel _ZN9rocsparseL29bsrmmnt_small_blockdim_kernelILj64ELj8ELj2EllddddEEv20rocsparse_direction_T3_S2_llNS_24const_host_device_scalarIT7_EEPKT2_PKS2_PKT4_PKT5_llS5_PT6_ll16rocsparse_order_21rocsparse_index_base_b
		.amdhsa_group_segment_fixed_size 2048
		.amdhsa_private_segment_fixed_size 0
		.amdhsa_kernarg_size 400
		.amdhsa_user_sgpr_count 2
		.amdhsa_user_sgpr_dispatch_ptr 0
		.amdhsa_user_sgpr_queue_ptr 0
		.amdhsa_user_sgpr_kernarg_segment_ptr 1
		.amdhsa_user_sgpr_dispatch_id 0
		.amdhsa_user_sgpr_kernarg_preload_length 0
		.amdhsa_user_sgpr_kernarg_preload_offset 0
		.amdhsa_user_sgpr_private_segment_size 0
		.amdhsa_wavefront_size32 1
		.amdhsa_uses_dynamic_stack 0
		.amdhsa_enable_private_segment 0
		.amdhsa_system_sgpr_workgroup_id_x 1
		.amdhsa_system_sgpr_workgroup_id_y 0
		.amdhsa_system_sgpr_workgroup_id_z 0
		.amdhsa_system_sgpr_workgroup_info 0
		.amdhsa_system_vgpr_workitem_id 0
		.amdhsa_next_free_vgpr 46
		.amdhsa_next_free_sgpr 25
		.amdhsa_named_barrier_count 0
		.amdhsa_reserve_vcc 1
		.amdhsa_float_round_mode_32 0
		.amdhsa_float_round_mode_16_64 0
		.amdhsa_float_denorm_mode_32 3
		.amdhsa_float_denorm_mode_16_64 3
		.amdhsa_fp16_overflow 0
		.amdhsa_memory_ordered 1
		.amdhsa_forward_progress 1
		.amdhsa_inst_pref_size 11
		.amdhsa_round_robin_scheduling 0
		.amdhsa_exception_fp_ieee_invalid_op 0
		.amdhsa_exception_fp_denorm_src 0
		.amdhsa_exception_fp_ieee_div_zero 0
		.amdhsa_exception_fp_ieee_overflow 0
		.amdhsa_exception_fp_ieee_underflow 0
		.amdhsa_exception_fp_ieee_inexact 0
		.amdhsa_exception_int_div_zero 0
	.end_amdhsa_kernel
	.section	.text._ZN9rocsparseL29bsrmmnt_small_blockdim_kernelILj64ELj8ELj2EllddddEEv20rocsparse_direction_T3_S2_llNS_24const_host_device_scalarIT7_EEPKT2_PKS2_PKT4_PKT5_llS5_PT6_ll16rocsparse_order_21rocsparse_index_base_b,"axG",@progbits,_ZN9rocsparseL29bsrmmnt_small_blockdim_kernelILj64ELj8ELj2EllddddEEv20rocsparse_direction_T3_S2_llNS_24const_host_device_scalarIT7_EEPKT2_PKS2_PKT4_PKT5_llS5_PT6_ll16rocsparse_order_21rocsparse_index_base_b,comdat
.Lfunc_end41:
	.size	_ZN9rocsparseL29bsrmmnt_small_blockdim_kernelILj64ELj8ELj2EllddddEEv20rocsparse_direction_T3_S2_llNS_24const_host_device_scalarIT7_EEPKT2_PKS2_PKT4_PKT5_llS5_PT6_ll16rocsparse_order_21rocsparse_index_base_b, .Lfunc_end41-_ZN9rocsparseL29bsrmmnt_small_blockdim_kernelILj64ELj8ELj2EllddddEEv20rocsparse_direction_T3_S2_llNS_24const_host_device_scalarIT7_EEPKT2_PKS2_PKT4_PKT5_llS5_PT6_ll16rocsparse_order_21rocsparse_index_base_b
                                        ; -- End function
	.set _ZN9rocsparseL29bsrmmnt_small_blockdim_kernelILj64ELj8ELj2EllddddEEv20rocsparse_direction_T3_S2_llNS_24const_host_device_scalarIT7_EEPKT2_PKS2_PKT4_PKT5_llS5_PT6_ll16rocsparse_order_21rocsparse_index_base_b.num_vgpr, 46
	.set _ZN9rocsparseL29bsrmmnt_small_blockdim_kernelILj64ELj8ELj2EllddddEEv20rocsparse_direction_T3_S2_llNS_24const_host_device_scalarIT7_EEPKT2_PKS2_PKT4_PKT5_llS5_PT6_ll16rocsparse_order_21rocsparse_index_base_b.num_agpr, 0
	.set _ZN9rocsparseL29bsrmmnt_small_blockdim_kernelILj64ELj8ELj2EllddddEEv20rocsparse_direction_T3_S2_llNS_24const_host_device_scalarIT7_EEPKT2_PKS2_PKT4_PKT5_llS5_PT6_ll16rocsparse_order_21rocsparse_index_base_b.numbered_sgpr, 25
	.set _ZN9rocsparseL29bsrmmnt_small_blockdim_kernelILj64ELj8ELj2EllddddEEv20rocsparse_direction_T3_S2_llNS_24const_host_device_scalarIT7_EEPKT2_PKS2_PKT4_PKT5_llS5_PT6_ll16rocsparse_order_21rocsparse_index_base_b.num_named_barrier, 0
	.set _ZN9rocsparseL29bsrmmnt_small_blockdim_kernelILj64ELj8ELj2EllddddEEv20rocsparse_direction_T3_S2_llNS_24const_host_device_scalarIT7_EEPKT2_PKS2_PKT4_PKT5_llS5_PT6_ll16rocsparse_order_21rocsparse_index_base_b.private_seg_size, 0
	.set _ZN9rocsparseL29bsrmmnt_small_blockdim_kernelILj64ELj8ELj2EllddddEEv20rocsparse_direction_T3_S2_llNS_24const_host_device_scalarIT7_EEPKT2_PKS2_PKT4_PKT5_llS5_PT6_ll16rocsparse_order_21rocsparse_index_base_b.uses_vcc, 1
	.set _ZN9rocsparseL29bsrmmnt_small_blockdim_kernelILj64ELj8ELj2EllddddEEv20rocsparse_direction_T3_S2_llNS_24const_host_device_scalarIT7_EEPKT2_PKS2_PKT4_PKT5_llS5_PT6_ll16rocsparse_order_21rocsparse_index_base_b.uses_flat_scratch, 0
	.set _ZN9rocsparseL29bsrmmnt_small_blockdim_kernelILj64ELj8ELj2EllddddEEv20rocsparse_direction_T3_S2_llNS_24const_host_device_scalarIT7_EEPKT2_PKS2_PKT4_PKT5_llS5_PT6_ll16rocsparse_order_21rocsparse_index_base_b.has_dyn_sized_stack, 0
	.set _ZN9rocsparseL29bsrmmnt_small_blockdim_kernelILj64ELj8ELj2EllddddEEv20rocsparse_direction_T3_S2_llNS_24const_host_device_scalarIT7_EEPKT2_PKS2_PKT4_PKT5_llS5_PT6_ll16rocsparse_order_21rocsparse_index_base_b.has_recursion, 0
	.set _ZN9rocsparseL29bsrmmnt_small_blockdim_kernelILj64ELj8ELj2EllddddEEv20rocsparse_direction_T3_S2_llNS_24const_host_device_scalarIT7_EEPKT2_PKS2_PKT4_PKT5_llS5_PT6_ll16rocsparse_order_21rocsparse_index_base_b.has_indirect_call, 0
	.section	.AMDGPU.csdata,"",@progbits
; Kernel info:
; codeLenInByte = 1288
; TotalNumSgprs: 27
; NumVgprs: 46
; ScratchSize: 0
; MemoryBound: 0
; FloatMode: 240
; IeeeMode: 1
; LDSByteSize: 2048 bytes/workgroup (compile time only)
; SGPRBlocks: 0
; VGPRBlocks: 2
; NumSGPRsForWavesPerEU: 27
; NumVGPRsForWavesPerEU: 46
; NamedBarCnt: 0
; Occupancy: 16
; WaveLimiterHint : 1
; COMPUTE_PGM_RSRC2:SCRATCH_EN: 0
; COMPUTE_PGM_RSRC2:USER_SGPR: 2
; COMPUTE_PGM_RSRC2:TRAP_HANDLER: 0
; COMPUTE_PGM_RSRC2:TGID_X_EN: 1
; COMPUTE_PGM_RSRC2:TGID_Y_EN: 0
; COMPUTE_PGM_RSRC2:TGID_Z_EN: 0
; COMPUTE_PGM_RSRC2:TIDIG_COMP_CNT: 0
	.section	.text._ZN9rocsparseL29bsrmmnt_small_blockdim_kernelILj64ELj16ELj2EllddddEEv20rocsparse_direction_T3_S2_llNS_24const_host_device_scalarIT7_EEPKT2_PKS2_PKT4_PKT5_llS5_PT6_ll16rocsparse_order_21rocsparse_index_base_b,"axG",@progbits,_ZN9rocsparseL29bsrmmnt_small_blockdim_kernelILj64ELj16ELj2EllddddEEv20rocsparse_direction_T3_S2_llNS_24const_host_device_scalarIT7_EEPKT2_PKS2_PKT4_PKT5_llS5_PT6_ll16rocsparse_order_21rocsparse_index_base_b,comdat
	.globl	_ZN9rocsparseL29bsrmmnt_small_blockdim_kernelILj64ELj16ELj2EllddddEEv20rocsparse_direction_T3_S2_llNS_24const_host_device_scalarIT7_EEPKT2_PKS2_PKT4_PKT5_llS5_PT6_ll16rocsparse_order_21rocsparse_index_base_b ; -- Begin function _ZN9rocsparseL29bsrmmnt_small_blockdim_kernelILj64ELj16ELj2EllddddEEv20rocsparse_direction_T3_S2_llNS_24const_host_device_scalarIT7_EEPKT2_PKS2_PKT4_PKT5_llS5_PT6_ll16rocsparse_order_21rocsparse_index_base_b
	.p2align	8
	.type	_ZN9rocsparseL29bsrmmnt_small_blockdim_kernelILj64ELj16ELj2EllddddEEv20rocsparse_direction_T3_S2_llNS_24const_host_device_scalarIT7_EEPKT2_PKS2_PKT4_PKT5_llS5_PT6_ll16rocsparse_order_21rocsparse_index_base_b,@function
_ZN9rocsparseL29bsrmmnt_small_blockdim_kernelILj64ELj16ELj2EllddddEEv20rocsparse_direction_T3_S2_llNS_24const_host_device_scalarIT7_EEPKT2_PKS2_PKT4_PKT5_llS5_PT6_ll16rocsparse_order_21rocsparse_index_base_b: ; @_ZN9rocsparseL29bsrmmnt_small_blockdim_kernelILj64ELj16ELj2EllddddEEv20rocsparse_direction_T3_S2_llNS_24const_host_device_scalarIT7_EEPKT2_PKS2_PKT4_PKT5_llS5_PT6_ll16rocsparse_order_21rocsparse_index_base_b
; %bb.0:
	s_clause 0x2
	s_load_b96 s[20:22], s[0:1], 0x80
	s_load_b64 s[4:5], s[0:1], 0x28
	s_load_b64 s[2:3], s[0:1], 0x60
	s_wait_kmcnt 0x0
	s_bitcmp1_b32 s22, 0
	v_mov_b64_e32 v[2:3], s[4:5]
	s_cselect_b32 s6, -1, 0
	s_delay_alu instid0(SALU_CYCLE_1)
	s_and_b32 vcc_lo, exec_lo, s6
	s_xor_b32 s6, s6, -1
	s_cbranch_vccnz .LBB42_2
; %bb.1:
	v_mov_b32_e32 v1, 0
	flat_load_b64 v[2:3], v1, s[4:5]
.LBB42_2:
	v_mov_b64_e32 v[4:5], s[2:3]
	s_and_not1_b32 vcc_lo, exec_lo, s6
	s_cbranch_vccnz .LBB42_4
; %bb.3:
	s_wait_xcnt 0x0
	v_mov_b32_e32 v1, 0
	flat_load_b64 v[4:5], v1, s[2:3]
.LBB42_4:
	s_wait_loadcnt_dscnt 0x0
	v_cmp_neq_f64_e32 vcc_lo, 0, v[2:3]
	s_delay_alu instid0(VALU_DEP_2) | instskip(SKIP_1) | instid1(SALU_CYCLE_1)
	v_cmp_neq_f64_e64 s2, 1.0, v[4:5]
	s_or_b32 s2, vcc_lo, s2
	s_and_saveexec_b32 s3, s2
	s_cbranch_execz .LBB42_29
; %bb.5:
	s_clause 0x1
	s_load_b32 s2, s[0:1], 0x9c
	s_load_b128 s[12:15], s[0:1], 0x8
	s_bfe_u32 s3, ttmp6, 0x4000c
	s_and_b32 s4, ttmp6, 15
	s_add_co_i32 s3, s3, 1
	s_getreg_b32 s5, hwreg(HW_REG_IB_STS2, 6, 4)
	s_mul_i32 s3, ttmp9, s3
	s_delay_alu instid0(SALU_CYCLE_1) | instskip(SKIP_4) | instid1(SALU_CYCLE_1)
	s_add_co_i32 s4, s4, s3
	s_wait_kmcnt 0x0
	s_and_b32 s2, s2, 0xffff
	s_cmp_eq_u32 s5, 0
	s_cselect_b32 s3, ttmp9, s4
	v_mad_u32 v1, s3, s2, v0
	s_delay_alu instid0(VALU_DEP_1) | instskip(NEXT) | instid1(VALU_DEP_1)
	v_dual_mov_b32 v7, 0 :: v_dual_lshrrev_b32 v6, 5, v1
	v_cmp_gt_i64_e32 vcc_lo, s[12:13], v[6:7]
	s_and_b32 exec_lo, exec_lo, vcc_lo
	s_cbranch_execz .LBB42_29
; %bb.6:
	v_cmp_lt_i64_e64 s2, s[14:15], 1
	s_and_b32 vcc_lo, exec_lo, s2
	s_cbranch_vccnz .LBB42_29
; %bb.7:
	s_load_b256 s[4:11], s[0:1], 0x30
	v_dual_lshlrev_b32 v6, 3, v6 :: v_dual_lshrrev_b32 v8, 4, v1
	s_load_b128 s[16:19], s[0:1], 0x68
	v_mov_b32_e32 v9, 0
	s_cmp_lg_u32 s20, 1
	s_mov_b32 s13, 0
	s_mov_b32 s12, s21
	s_cselect_b32 s3, -1, 0
	s_wait_kmcnt 0x0
	global_load_b128 v[16:19], v6, s[4:5]
	s_wait_xcnt 0x0
	s_load_b64 s[4:5], s[0:1], 0x50
	v_dual_lshrrev_b32 v0, 4, v0 :: v_dual_bitop2_b32 v6, 15, v0 bitop3:0x40
	v_mul_u64_e32 v[10:11], s[18:19], v[8:9]
	s_wait_xcnt 0x0
	s_load_b32 s1, s[0:1], 0x0
	s_wait_xcnt 0x0
	v_cmp_neq_f64_e64 s0, 0, v[4:5]
	v_dual_mov_b32 v13, v9 :: v_dual_lshlrev_b32 v8, 3, v8
	v_lshl_or_b32 v32, v0, 7, 0x600
	v_mul_u32_u24_e32 v33, 0x180, v0
	v_mul_u32_u24_e32 v24, 24, v6
	s_delay_alu instid0(VALU_DEP_4) | instskip(SKIP_2) | instid1(VALU_DEP_4)
	v_and_b32_e32 v12, 8, v8
	v_add_nc_u64_e32 v[0:1], s[16:17], v[8:9]
	v_lshl_or_b32 v34, v6, 3, v32
	v_add_nc_u32_e32 v35, v33, v24
	s_delay_alu instid0(VALU_DEP_4) | instskip(SKIP_1) | instid1(VALU_DEP_1)
	v_add_nc_u64_e32 v[20:21], s[8:9], v[12:13]
	s_mov_b64 s[8:9], 0
	v_add_nc_u64_e32 v[22:23], v[20:21], v[12:13]
	s_wait_kmcnt 0x0
	s_cmp_eq_u32 s1, 0
	s_cselect_b32 vcc_lo, -1, 0
	v_mov_b32_e32 v7, v9
	s_and_b32 s2, vcc_lo, exec_lo
	s_delay_alu instid0(VALU_DEP_2)
	v_dual_cndmask_b32 v9, v21, v23 :: v_dual_cndmask_b32 v8, v20, v22
	v_lshl_add_u64 v[10:11], v[10:11], 3, s[16:17]
	s_cselect_b32 s16, 8, 16
	s_mov_b32 s17, s13
	s_lshl_b64 s[20:21], s[4:5], 3
	s_wait_loadcnt 0x0
	v_sub_nc_u64_e64 v[12:13], v[16:17], s[12:13]
	v_sub_nc_u64_e64 v[14:15], v[18:19], s[12:13]
	v_cmp_lt_i64_e64 s1, v[16:17], v[18:19]
	s_branch .LBB42_9
.LBB42_8:                               ;   in Loop: Header=BB42_9 Depth=1
	s_wait_xcnt 0x0
	s_or_b32 exec_lo, exec_lo, s2
	s_add_nc_u64 s[8:9], s[8:9], 16
	s_delay_alu instid0(SALU_CYCLE_1)
	v_cmp_lt_i64_e64 s2, s[8:9], s[14:15]
	s_and_b32 vcc_lo, exec_lo, s2
	s_cbranch_vccz .LBB42_29
.LBB42_9:                               ; =>This Loop Header: Depth=1
                                        ;     Child Loop BB42_12 Depth 2
                                        ;       Child Loop BB42_16 Depth 3
	v_mov_b64_e32 v[18:19], 0
	v_dual_mov_b32 v17, s9 :: v_dual_bitop2_b32 v16, s8, v6 bitop3:0x54
	s_delay_alu instid0(VALU_DEP_3)
	s_and_saveexec_b32 s22, s1
	s_cbranch_execz .LBB42_18
; %bb.10:                               ;   in Loop: Header=BB42_9 Depth=1
	v_mov_b64_e32 v[18:19], 0
	v_mov_b64_e32 v[22:23], v[12:13]
	v_lshl_add_u64 v[20:21], v[16:17], 3, s[10:11]
	s_mov_b32 s23, 0
	v_cmp_gt_i64_e32 vcc_lo, s[14:15], v[16:17]
	s_branch .LBB42_12
.LBB42_11:                              ;   in Loop: Header=BB42_12 Depth=2
	s_or_b32 exec_lo, exec_lo, s2
	v_add_nc_u64_e32 v[22:23], 16, v[22:23]
	s_delay_alu instid0(VALU_DEP_1) | instskip(SKIP_1) | instid1(SALU_CYCLE_1)
	v_cmp_ge_i64_e64 s2, v[22:23], v[14:15]
	s_or_b32 s23, s2, s23
	s_and_not1_b32 exec_lo, exec_lo, s23
	s_cbranch_execz .LBB42_17
.LBB42_12:                              ;   Parent Loop BB42_9 Depth=1
                                        ; =>  This Loop Header: Depth=2
                                        ;       Child Loop BB42_16 Depth 3
	s_delay_alu instid0(VALU_DEP_3) | instskip(SKIP_4) | instid1(VALU_DEP_4)
	v_add_nc_u64_e32 v[30:31], v[22:23], v[6:7]
	v_mov_b64_e32 v[28:29], 0
	v_mov_b64_e32 v[24:25], 0
	;; [unrolled: 1-line block ×3, first 2 shown]
	s_mov_b32 s24, exec_lo
	v_cmpx_lt_i64_e64 v[30:31], v[14:15]
	s_cbranch_execz .LBB42_14
; %bb.13:                               ;   in Loop: Header=BB42_12 Depth=2
	v_lshlrev_b64_e32 v[24:25], 5, v[30:31]
	v_lshl_add_u64 v[26:27], v[30:31], 3, s[6:7]
	global_load_b64 v[28:29], v[26:27], off
	v_add_nc_u64_e32 v[30:31], v[8:9], v[24:25]
	s_delay_alu instid0(VALU_DEP_1)
	v_add_nc_u64_e32 v[36:37], s[16:17], v[30:31]
	s_clause 0x1
	global_load_b64 v[24:25], v[30:31], off
	global_load_b64 v[26:27], v[36:37], off
	s_wait_loadcnt 0x2
	v_sub_nc_u64_e64 v[28:29], v[28:29], s[12:13]
	s_delay_alu instid0(VALU_DEP_1)
	v_lshlrev_b64_e32 v[28:29], 1, v[28:29]
.LBB42_14:                              ;   in Loop: Header=BB42_12 Depth=2
	s_wait_xcnt 0x0
	s_or_b32 exec_lo, exec_lo, s24
	ds_store_b64 v34, v[28:29]
	s_wait_loadcnt 0x0
	ds_store_2addr_b64 v35, v[24:25], v[26:27] offset1:1
	s_wait_dscnt 0x0
	s_barrier_signal -1
	s_barrier_wait -1
	s_and_saveexec_b32 s2, vcc_lo
	s_cbranch_execz .LBB42_11
; %bb.15:                               ;   in Loop: Header=BB42_12 Depth=2
	v_mov_b32_e32 v24, v33
	s_mov_b32 s24, 0
.LBB42_16:                              ;   Parent Loop BB42_9 Depth=1
                                        ;     Parent Loop BB42_12 Depth=2
                                        ; =>    This Inner Loop Header: Depth=3
	s_delay_alu instid0(SALU_CYCLE_1) | instskip(SKIP_1) | instid1(SALU_CYCLE_1)
	v_add_nc_u32_e32 v25, s24, v32
	s_add_co_i32 s24, s24, 16
	s_cmp_lg_u32 s24, 0x80
	ds_load_b128 v[26:29], v25
	s_wait_dscnt 0x0
	v_mul_u64_e32 v[26:27], s[4:5], v[26:27]
	v_mul_u64_e32 v[28:29], s[4:5], v[28:29]
	s_delay_alu instid0(VALU_DEP_2)
	v_lshl_add_u64 v[26:27], v[26:27], 3, v[20:21]
	global_load_b64 v[30:31], v[26:27], off
	s_wait_xcnt 0x0
	v_add_nc_u64_e32 v[26:27], s[20:21], v[26:27]
	global_load_b64 v[40:41], v[26:27], off
	s_wait_xcnt 0x0
	v_lshl_add_u64 v[26:27], v[28:29], 3, v[20:21]
	global_load_b64 v[42:43], v[26:27], off
	s_wait_xcnt 0x0
	v_add_nc_u64_e32 v[26:27], s[20:21], v[26:27]
	global_load_b64 v[44:45], v[26:27], off
	s_wait_xcnt 0x0
	ds_load_b128 v[26:29], v24
	ds_load_2addr_b64 v[36:39], v24 offset0:3 offset1:4
	v_add_nc_u32_e32 v24, 48, v24
	s_wait_loadcnt_dscnt 0x301
	v_fmac_f64_e32 v[18:19], v[26:27], v[30:31]
	s_wait_loadcnt 0x2
	s_delay_alu instid0(VALU_DEP_1) | instskip(SKIP_1) | instid1(VALU_DEP_1)
	v_fmac_f64_e32 v[18:19], v[28:29], v[40:41]
	s_wait_loadcnt_dscnt 0x100
	v_fmac_f64_e32 v[18:19], v[36:37], v[42:43]
	s_wait_loadcnt 0x0
	s_delay_alu instid0(VALU_DEP_1)
	v_fmac_f64_e32 v[18:19], v[38:39], v[44:45]
	s_cbranch_scc1 .LBB42_16
	s_branch .LBB42_11
.LBB42_17:                              ;   in Loop: Header=BB42_9 Depth=1
	s_or_b32 exec_lo, exec_lo, s23
.LBB42_18:                              ;   in Loop: Header=BB42_9 Depth=1
	s_delay_alu instid0(SALU_CYCLE_1) | instskip(NEXT) | instid1(SALU_CYCLE_1)
	s_or_b32 exec_lo, exec_lo, s22
	s_mov_b32 s2, exec_lo
	v_cmpx_gt_i64_e64 s[14:15], v[16:17]
	s_cbranch_execz .LBB42_8
; %bb.19:                               ;   in Loop: Header=BB42_9 Depth=1
	s_and_saveexec_b32 s22, s0
	s_delay_alu instid0(SALU_CYCLE_1)
	s_xor_b32 s22, exec_lo, s22
	s_cbranch_execz .LBB42_24
; %bb.20:                               ;   in Loop: Header=BB42_9 Depth=1
	s_and_b32 vcc_lo, exec_lo, s3
	s_mov_b32 s23, -1
	s_cbranch_vccz .LBB42_22
; %bb.21:                               ;   in Loop: Header=BB42_9 Depth=1
	v_lshl_add_u64 v[20:21], v[16:17], 3, v[10:11]
	v_mul_f64_e32 v[24:25], v[2:3], v[18:19]
	s_mov_b32 s23, 0
	global_load_b64 v[22:23], v[20:21], off
	s_wait_loadcnt 0x0
	v_fmac_f64_e32 v[24:25], v[4:5], v[22:23]
	global_store_b64 v[20:21], v[24:25], off
.LBB42_22:                              ;   in Loop: Header=BB42_9 Depth=1
	s_and_not1_b32 vcc_lo, exec_lo, s23
	s_cbranch_vccnz .LBB42_24
; %bb.23:                               ;   in Loop: Header=BB42_9 Depth=1
	v_mul_u64_e32 v[16:17], s[18:19], v[16:17]
	v_mul_f64_e32 v[18:19], v[2:3], v[18:19]
	s_delay_alu instid0(VALU_DEP_2)
	v_lshl_add_u64 v[16:17], v[16:17], 3, v[0:1]
	global_load_b64 v[20:21], v[16:17], off
	s_wait_loadcnt 0x0
	v_fmac_f64_e32 v[18:19], v[4:5], v[20:21]
	global_store_b64 v[16:17], v[18:19], off
                                        ; implicit-def: $vgpr16_vgpr17
                                        ; implicit-def: $vgpr18_vgpr19
.LBB42_24:                              ;   in Loop: Header=BB42_9 Depth=1
	s_wait_xcnt 0x0
	s_and_not1_saveexec_b32 s22, s22
	s_cbranch_execz .LBB42_8
; %bb.25:                               ;   in Loop: Header=BB42_9 Depth=1
	v_mul_f64_e32 v[18:19], v[2:3], v[18:19]
	s_and_b32 vcc_lo, exec_lo, s3
	s_mov_b32 s22, -1
	s_cbranch_vccz .LBB42_27
; %bb.26:                               ;   in Loop: Header=BB42_9 Depth=1
	v_lshl_add_u64 v[20:21], v[16:17], 3, v[10:11]
	s_mov_b32 s22, 0
	global_store_b64 v[20:21], v[18:19], off
.LBB42_27:                              ;   in Loop: Header=BB42_9 Depth=1
	s_and_not1_b32 vcc_lo, exec_lo, s22
	s_cbranch_vccnz .LBB42_8
; %bb.28:                               ;   in Loop: Header=BB42_9 Depth=1
	v_mul_u64_e32 v[16:17], s[18:19], v[16:17]
	s_delay_alu instid0(VALU_DEP_1)
	v_lshl_add_u64 v[16:17], v[16:17], 3, v[0:1]
	global_store_b64 v[16:17], v[18:19], off
	s_branch .LBB42_8
.LBB42_29:
	s_endpgm
	.section	.rodata,"a",@progbits
	.p2align	6, 0x0
	.amdhsa_kernel _ZN9rocsparseL29bsrmmnt_small_blockdim_kernelILj64ELj16ELj2EllddddEEv20rocsparse_direction_T3_S2_llNS_24const_host_device_scalarIT7_EEPKT2_PKS2_PKT4_PKT5_llS5_PT6_ll16rocsparse_order_21rocsparse_index_base_b
		.amdhsa_group_segment_fixed_size 2048
		.amdhsa_private_segment_fixed_size 0
		.amdhsa_kernarg_size 400
		.amdhsa_user_sgpr_count 2
		.amdhsa_user_sgpr_dispatch_ptr 0
		.amdhsa_user_sgpr_queue_ptr 0
		.amdhsa_user_sgpr_kernarg_segment_ptr 1
		.amdhsa_user_sgpr_dispatch_id 0
		.amdhsa_user_sgpr_kernarg_preload_length 0
		.amdhsa_user_sgpr_kernarg_preload_offset 0
		.amdhsa_user_sgpr_private_segment_size 0
		.amdhsa_wavefront_size32 1
		.amdhsa_uses_dynamic_stack 0
		.amdhsa_enable_private_segment 0
		.amdhsa_system_sgpr_workgroup_id_x 1
		.amdhsa_system_sgpr_workgroup_id_y 0
		.amdhsa_system_sgpr_workgroup_id_z 0
		.amdhsa_system_sgpr_workgroup_info 0
		.amdhsa_system_vgpr_workitem_id 0
		.amdhsa_next_free_vgpr 46
		.amdhsa_next_free_sgpr 25
		.amdhsa_named_barrier_count 0
		.amdhsa_reserve_vcc 1
		.amdhsa_float_round_mode_32 0
		.amdhsa_float_round_mode_16_64 0
		.amdhsa_float_denorm_mode_32 3
		.amdhsa_float_denorm_mode_16_64 3
		.amdhsa_fp16_overflow 0
		.amdhsa_memory_ordered 1
		.amdhsa_forward_progress 1
		.amdhsa_inst_pref_size 11
		.amdhsa_round_robin_scheduling 0
		.amdhsa_exception_fp_ieee_invalid_op 0
		.amdhsa_exception_fp_denorm_src 0
		.amdhsa_exception_fp_ieee_div_zero 0
		.amdhsa_exception_fp_ieee_overflow 0
		.amdhsa_exception_fp_ieee_underflow 0
		.amdhsa_exception_fp_ieee_inexact 0
		.amdhsa_exception_int_div_zero 0
	.end_amdhsa_kernel
	.section	.text._ZN9rocsparseL29bsrmmnt_small_blockdim_kernelILj64ELj16ELj2EllddddEEv20rocsparse_direction_T3_S2_llNS_24const_host_device_scalarIT7_EEPKT2_PKS2_PKT4_PKT5_llS5_PT6_ll16rocsparse_order_21rocsparse_index_base_b,"axG",@progbits,_ZN9rocsparseL29bsrmmnt_small_blockdim_kernelILj64ELj16ELj2EllddddEEv20rocsparse_direction_T3_S2_llNS_24const_host_device_scalarIT7_EEPKT2_PKS2_PKT4_PKT5_llS5_PT6_ll16rocsparse_order_21rocsparse_index_base_b,comdat
.Lfunc_end42:
	.size	_ZN9rocsparseL29bsrmmnt_small_blockdim_kernelILj64ELj16ELj2EllddddEEv20rocsparse_direction_T3_S2_llNS_24const_host_device_scalarIT7_EEPKT2_PKS2_PKT4_PKT5_llS5_PT6_ll16rocsparse_order_21rocsparse_index_base_b, .Lfunc_end42-_ZN9rocsparseL29bsrmmnt_small_blockdim_kernelILj64ELj16ELj2EllddddEEv20rocsparse_direction_T3_S2_llNS_24const_host_device_scalarIT7_EEPKT2_PKS2_PKT4_PKT5_llS5_PT6_ll16rocsparse_order_21rocsparse_index_base_b
                                        ; -- End function
	.set _ZN9rocsparseL29bsrmmnt_small_blockdim_kernelILj64ELj16ELj2EllddddEEv20rocsparse_direction_T3_S2_llNS_24const_host_device_scalarIT7_EEPKT2_PKS2_PKT4_PKT5_llS5_PT6_ll16rocsparse_order_21rocsparse_index_base_b.num_vgpr, 46
	.set _ZN9rocsparseL29bsrmmnt_small_blockdim_kernelILj64ELj16ELj2EllddddEEv20rocsparse_direction_T3_S2_llNS_24const_host_device_scalarIT7_EEPKT2_PKS2_PKT4_PKT5_llS5_PT6_ll16rocsparse_order_21rocsparse_index_base_b.num_agpr, 0
	.set _ZN9rocsparseL29bsrmmnt_small_blockdim_kernelILj64ELj16ELj2EllddddEEv20rocsparse_direction_T3_S2_llNS_24const_host_device_scalarIT7_EEPKT2_PKS2_PKT4_PKT5_llS5_PT6_ll16rocsparse_order_21rocsparse_index_base_b.numbered_sgpr, 25
	.set _ZN9rocsparseL29bsrmmnt_small_blockdim_kernelILj64ELj16ELj2EllddddEEv20rocsparse_direction_T3_S2_llNS_24const_host_device_scalarIT7_EEPKT2_PKS2_PKT4_PKT5_llS5_PT6_ll16rocsparse_order_21rocsparse_index_base_b.num_named_barrier, 0
	.set _ZN9rocsparseL29bsrmmnt_small_blockdim_kernelILj64ELj16ELj2EllddddEEv20rocsparse_direction_T3_S2_llNS_24const_host_device_scalarIT7_EEPKT2_PKS2_PKT4_PKT5_llS5_PT6_ll16rocsparse_order_21rocsparse_index_base_b.private_seg_size, 0
	.set _ZN9rocsparseL29bsrmmnt_small_blockdim_kernelILj64ELj16ELj2EllddddEEv20rocsparse_direction_T3_S2_llNS_24const_host_device_scalarIT7_EEPKT2_PKS2_PKT4_PKT5_llS5_PT6_ll16rocsparse_order_21rocsparse_index_base_b.uses_vcc, 1
	.set _ZN9rocsparseL29bsrmmnt_small_blockdim_kernelILj64ELj16ELj2EllddddEEv20rocsparse_direction_T3_S2_llNS_24const_host_device_scalarIT7_EEPKT2_PKS2_PKT4_PKT5_llS5_PT6_ll16rocsparse_order_21rocsparse_index_base_b.uses_flat_scratch, 0
	.set _ZN9rocsparseL29bsrmmnt_small_blockdim_kernelILj64ELj16ELj2EllddddEEv20rocsparse_direction_T3_S2_llNS_24const_host_device_scalarIT7_EEPKT2_PKS2_PKT4_PKT5_llS5_PT6_ll16rocsparse_order_21rocsparse_index_base_b.has_dyn_sized_stack, 0
	.set _ZN9rocsparseL29bsrmmnt_small_blockdim_kernelILj64ELj16ELj2EllddddEEv20rocsparse_direction_T3_S2_llNS_24const_host_device_scalarIT7_EEPKT2_PKS2_PKT4_PKT5_llS5_PT6_ll16rocsparse_order_21rocsparse_index_base_b.has_recursion, 0
	.set _ZN9rocsparseL29bsrmmnt_small_blockdim_kernelILj64ELj16ELj2EllddddEEv20rocsparse_direction_T3_S2_llNS_24const_host_device_scalarIT7_EEPKT2_PKS2_PKT4_PKT5_llS5_PT6_ll16rocsparse_order_21rocsparse_index_base_b.has_indirect_call, 0
	.section	.AMDGPU.csdata,"",@progbits
; Kernel info:
; codeLenInByte = 1288
; TotalNumSgprs: 27
; NumVgprs: 46
; ScratchSize: 0
; MemoryBound: 0
; FloatMode: 240
; IeeeMode: 1
; LDSByteSize: 2048 bytes/workgroup (compile time only)
; SGPRBlocks: 0
; VGPRBlocks: 2
; NumSGPRsForWavesPerEU: 27
; NumVGPRsForWavesPerEU: 46
; NamedBarCnt: 0
; Occupancy: 16
; WaveLimiterHint : 1
; COMPUTE_PGM_RSRC2:SCRATCH_EN: 0
; COMPUTE_PGM_RSRC2:USER_SGPR: 2
; COMPUTE_PGM_RSRC2:TRAP_HANDLER: 0
; COMPUTE_PGM_RSRC2:TGID_X_EN: 1
; COMPUTE_PGM_RSRC2:TGID_Y_EN: 0
; COMPUTE_PGM_RSRC2:TGID_Z_EN: 0
; COMPUTE_PGM_RSRC2:TIDIG_COMP_CNT: 0
	.section	.text._ZN9rocsparseL29bsrmmnt_small_blockdim_kernelILj64ELj32ELj2EllddddEEv20rocsparse_direction_T3_S2_llNS_24const_host_device_scalarIT7_EEPKT2_PKS2_PKT4_PKT5_llS5_PT6_ll16rocsparse_order_21rocsparse_index_base_b,"axG",@progbits,_ZN9rocsparseL29bsrmmnt_small_blockdim_kernelILj64ELj32ELj2EllddddEEv20rocsparse_direction_T3_S2_llNS_24const_host_device_scalarIT7_EEPKT2_PKS2_PKT4_PKT5_llS5_PT6_ll16rocsparse_order_21rocsparse_index_base_b,comdat
	.globl	_ZN9rocsparseL29bsrmmnt_small_blockdim_kernelILj64ELj32ELj2EllddddEEv20rocsparse_direction_T3_S2_llNS_24const_host_device_scalarIT7_EEPKT2_PKS2_PKT4_PKT5_llS5_PT6_ll16rocsparse_order_21rocsparse_index_base_b ; -- Begin function _ZN9rocsparseL29bsrmmnt_small_blockdim_kernelILj64ELj32ELj2EllddddEEv20rocsparse_direction_T3_S2_llNS_24const_host_device_scalarIT7_EEPKT2_PKS2_PKT4_PKT5_llS5_PT6_ll16rocsparse_order_21rocsparse_index_base_b
	.p2align	8
	.type	_ZN9rocsparseL29bsrmmnt_small_blockdim_kernelILj64ELj32ELj2EllddddEEv20rocsparse_direction_T3_S2_llNS_24const_host_device_scalarIT7_EEPKT2_PKS2_PKT4_PKT5_llS5_PT6_ll16rocsparse_order_21rocsparse_index_base_b,@function
_ZN9rocsparseL29bsrmmnt_small_blockdim_kernelILj64ELj32ELj2EllddddEEv20rocsparse_direction_T3_S2_llNS_24const_host_device_scalarIT7_EEPKT2_PKS2_PKT4_PKT5_llS5_PT6_ll16rocsparse_order_21rocsparse_index_base_b: ; @_ZN9rocsparseL29bsrmmnt_small_blockdim_kernelILj64ELj32ELj2EllddddEEv20rocsparse_direction_T3_S2_llNS_24const_host_device_scalarIT7_EEPKT2_PKS2_PKT4_PKT5_llS5_PT6_ll16rocsparse_order_21rocsparse_index_base_b
; %bb.0:
	s_clause 0x2
	s_load_b96 s[20:22], s[0:1], 0x80
	s_load_b64 s[4:5], s[0:1], 0x28
	s_load_b64 s[2:3], s[0:1], 0x60
	s_wait_kmcnt 0x0
	s_bitcmp1_b32 s22, 0
	v_mov_b64_e32 v[2:3], s[4:5]
	s_cselect_b32 s6, -1, 0
	s_delay_alu instid0(SALU_CYCLE_1)
	s_and_b32 vcc_lo, exec_lo, s6
	s_xor_b32 s6, s6, -1
	s_cbranch_vccnz .LBB43_2
; %bb.1:
	v_mov_b32_e32 v1, 0
	flat_load_b64 v[2:3], v1, s[4:5]
.LBB43_2:
	v_mov_b64_e32 v[4:5], s[2:3]
	s_and_not1_b32 vcc_lo, exec_lo, s6
	s_cbranch_vccnz .LBB43_4
; %bb.3:
	s_wait_xcnt 0x0
	v_mov_b32_e32 v1, 0
	flat_load_b64 v[4:5], v1, s[2:3]
.LBB43_4:
	s_wait_loadcnt_dscnt 0x0
	v_cmp_neq_f64_e32 vcc_lo, 0, v[2:3]
	s_delay_alu instid0(VALU_DEP_2) | instskip(SKIP_1) | instid1(SALU_CYCLE_1)
	v_cmp_neq_f64_e64 s2, 1.0, v[4:5]
	s_or_b32 s2, vcc_lo, s2
	s_and_saveexec_b32 s3, s2
	s_cbranch_execz .LBB43_29
; %bb.5:
	s_clause 0x1
	s_load_b32 s2, s[0:1], 0x9c
	s_load_b128 s[12:15], s[0:1], 0x8
	s_bfe_u32 s3, ttmp6, 0x4000c
	s_and_b32 s4, ttmp6, 15
	s_add_co_i32 s3, s3, 1
	s_getreg_b32 s5, hwreg(HW_REG_IB_STS2, 6, 4)
	s_mul_i32 s3, ttmp9, s3
	s_delay_alu instid0(SALU_CYCLE_1) | instskip(SKIP_4) | instid1(SALU_CYCLE_1)
	s_add_co_i32 s4, s4, s3
	s_wait_kmcnt 0x0
	s_and_b32 s2, s2, 0xffff
	s_cmp_eq_u32 s5, 0
	s_cselect_b32 s3, ttmp9, s4
	v_mad_u32 v1, s3, s2, v0
	s_delay_alu instid0(VALU_DEP_1) | instskip(NEXT) | instid1(VALU_DEP_1)
	v_dual_mov_b32 v7, 0 :: v_dual_lshrrev_b32 v6, 6, v1
	v_cmp_gt_i64_e32 vcc_lo, s[12:13], v[6:7]
	s_and_b32 exec_lo, exec_lo, vcc_lo
	s_cbranch_execz .LBB43_29
; %bb.6:
	v_cmp_lt_i64_e64 s2, s[14:15], 1
	s_and_b32 vcc_lo, exec_lo, s2
	s_cbranch_vccnz .LBB43_29
; %bb.7:
	s_load_b256 s[4:11], s[0:1], 0x30
	v_dual_lshlrev_b32 v6, 3, v6 :: v_dual_lshrrev_b32 v8, 5, v1
	s_load_b128 s[16:19], s[0:1], 0x68
	v_mov_b32_e32 v9, 0
	s_cmp_lg_u32 s20, 1
	s_mov_b32 s13, 0
	s_mov_b32 s12, s21
	s_cselect_b32 s3, -1, 0
	s_wait_kmcnt 0x0
	global_load_b128 v[16:19], v6, s[4:5]
	s_wait_xcnt 0x0
	s_load_b64 s[4:5], s[0:1], 0x50
	v_dual_lshrrev_b32 v0, 5, v0 :: v_dual_bitop2_b32 v6, 31, v0 bitop3:0x40
	v_mul_u64_e32 v[10:11], s[18:19], v[8:9]
	s_wait_xcnt 0x0
	s_load_b32 s1, s[0:1], 0x0
	s_wait_xcnt 0x0
	v_cmp_neq_f64_e64 s0, 0, v[4:5]
	v_dual_mov_b32 v13, v9 :: v_dual_lshlrev_b32 v8, 3, v8
	v_lshl_or_b32 v32, v0, 8, 0x600
	v_mul_u32_u24_e32 v33, 0x300, v0
	v_mul_u32_u24_e32 v24, 24, v6
	s_delay_alu instid0(VALU_DEP_4) | instskip(SKIP_2) | instid1(VALU_DEP_4)
	v_and_b32_e32 v12, 8, v8
	v_add_nc_u64_e32 v[0:1], s[16:17], v[8:9]
	v_lshl_or_b32 v34, v6, 3, v32
	v_add_nc_u32_e32 v35, v33, v24
	s_delay_alu instid0(VALU_DEP_4) | instskip(SKIP_1) | instid1(VALU_DEP_1)
	v_add_nc_u64_e32 v[20:21], s[8:9], v[12:13]
	s_mov_b64 s[8:9], 0
	v_add_nc_u64_e32 v[22:23], v[20:21], v[12:13]
	s_wait_kmcnt 0x0
	s_cmp_eq_u32 s1, 0
	s_cselect_b32 vcc_lo, -1, 0
	v_mov_b32_e32 v7, v9
	s_and_b32 s2, vcc_lo, exec_lo
	s_delay_alu instid0(VALU_DEP_2)
	v_dual_cndmask_b32 v9, v21, v23 :: v_dual_cndmask_b32 v8, v20, v22
	v_lshl_add_u64 v[10:11], v[10:11], 3, s[16:17]
	s_cselect_b32 s16, 8, 16
	s_mov_b32 s17, s13
	s_lshl_b64 s[20:21], s[4:5], 3
	s_wait_loadcnt 0x0
	v_sub_nc_u64_e64 v[12:13], v[16:17], s[12:13]
	v_sub_nc_u64_e64 v[14:15], v[18:19], s[12:13]
	v_cmp_lt_i64_e64 s1, v[16:17], v[18:19]
	s_branch .LBB43_9
.LBB43_8:                               ;   in Loop: Header=BB43_9 Depth=1
	s_wait_xcnt 0x0
	s_or_b32 exec_lo, exec_lo, s2
	s_add_nc_u64 s[8:9], s[8:9], 32
	s_delay_alu instid0(SALU_CYCLE_1)
	v_cmp_lt_i64_e64 s2, s[8:9], s[14:15]
	s_and_b32 vcc_lo, exec_lo, s2
	s_cbranch_vccz .LBB43_29
.LBB43_9:                               ; =>This Loop Header: Depth=1
                                        ;     Child Loop BB43_12 Depth 2
                                        ;       Child Loop BB43_16 Depth 3
	v_mov_b64_e32 v[18:19], 0
	v_dual_mov_b32 v17, s9 :: v_dual_bitop2_b32 v16, s8, v6 bitop3:0x54
	s_delay_alu instid0(VALU_DEP_3)
	s_and_saveexec_b32 s22, s1
	s_cbranch_execz .LBB43_18
; %bb.10:                               ;   in Loop: Header=BB43_9 Depth=1
	v_mov_b64_e32 v[18:19], 0
	v_mov_b64_e32 v[22:23], v[12:13]
	v_lshl_add_u64 v[20:21], v[16:17], 3, s[10:11]
	s_mov_b32 s23, 0
	v_cmp_gt_i64_e32 vcc_lo, s[14:15], v[16:17]
	s_branch .LBB43_12
.LBB43_11:                              ;   in Loop: Header=BB43_12 Depth=2
	s_or_b32 exec_lo, exec_lo, s2
	v_add_nc_u64_e32 v[22:23], 32, v[22:23]
	s_delay_alu instid0(VALU_DEP_1) | instskip(SKIP_1) | instid1(SALU_CYCLE_1)
	v_cmp_ge_i64_e64 s2, v[22:23], v[14:15]
	s_or_b32 s23, s2, s23
	s_and_not1_b32 exec_lo, exec_lo, s23
	s_cbranch_execz .LBB43_17
.LBB43_12:                              ;   Parent Loop BB43_9 Depth=1
                                        ; =>  This Loop Header: Depth=2
                                        ;       Child Loop BB43_16 Depth 3
	s_delay_alu instid0(VALU_DEP_3) | instskip(SKIP_4) | instid1(VALU_DEP_4)
	v_add_nc_u64_e32 v[30:31], v[22:23], v[6:7]
	v_mov_b64_e32 v[28:29], 0
	v_mov_b64_e32 v[24:25], 0
	;; [unrolled: 1-line block ×3, first 2 shown]
	s_mov_b32 s24, exec_lo
	v_cmpx_lt_i64_e64 v[30:31], v[14:15]
	s_cbranch_execz .LBB43_14
; %bb.13:                               ;   in Loop: Header=BB43_12 Depth=2
	v_lshlrev_b64_e32 v[24:25], 5, v[30:31]
	v_lshl_add_u64 v[26:27], v[30:31], 3, s[6:7]
	global_load_b64 v[28:29], v[26:27], off
	v_add_nc_u64_e32 v[30:31], v[8:9], v[24:25]
	s_delay_alu instid0(VALU_DEP_1)
	v_add_nc_u64_e32 v[36:37], s[16:17], v[30:31]
	s_clause 0x1
	global_load_b64 v[24:25], v[30:31], off
	global_load_b64 v[26:27], v[36:37], off
	s_wait_loadcnt 0x2
	v_sub_nc_u64_e64 v[28:29], v[28:29], s[12:13]
	s_delay_alu instid0(VALU_DEP_1)
	v_lshlrev_b64_e32 v[28:29], 1, v[28:29]
.LBB43_14:                              ;   in Loop: Header=BB43_12 Depth=2
	s_wait_xcnt 0x0
	s_or_b32 exec_lo, exec_lo, s24
	ds_store_b64 v34, v[28:29]
	s_wait_loadcnt 0x0
	ds_store_2addr_b64 v35, v[24:25], v[26:27] offset1:1
	s_wait_dscnt 0x0
	s_barrier_signal -1
	s_barrier_wait -1
	s_and_saveexec_b32 s2, vcc_lo
	s_cbranch_execz .LBB43_11
; %bb.15:                               ;   in Loop: Header=BB43_12 Depth=2
	v_mov_b32_e32 v24, v33
	s_mov_b32 s24, 0
.LBB43_16:                              ;   Parent Loop BB43_9 Depth=1
                                        ;     Parent Loop BB43_12 Depth=2
                                        ; =>    This Inner Loop Header: Depth=3
	s_delay_alu instid0(SALU_CYCLE_1) | instskip(SKIP_1) | instid1(SALU_CYCLE_1)
	v_add_nc_u32_e32 v25, s24, v32
	s_add_co_i32 s24, s24, 16
	s_cmp_lg_u32 s24, 0x100
	ds_load_b128 v[26:29], v25
	s_wait_dscnt 0x0
	v_mul_u64_e32 v[26:27], s[4:5], v[26:27]
	v_mul_u64_e32 v[28:29], s[4:5], v[28:29]
	s_delay_alu instid0(VALU_DEP_2)
	v_lshl_add_u64 v[26:27], v[26:27], 3, v[20:21]
	global_load_b64 v[30:31], v[26:27], off
	s_wait_xcnt 0x0
	v_add_nc_u64_e32 v[26:27], s[20:21], v[26:27]
	global_load_b64 v[40:41], v[26:27], off
	s_wait_xcnt 0x0
	v_lshl_add_u64 v[26:27], v[28:29], 3, v[20:21]
	global_load_b64 v[42:43], v[26:27], off
	s_wait_xcnt 0x0
	v_add_nc_u64_e32 v[26:27], s[20:21], v[26:27]
	global_load_b64 v[44:45], v[26:27], off
	s_wait_xcnt 0x0
	ds_load_b128 v[26:29], v24
	ds_load_2addr_b64 v[36:39], v24 offset0:3 offset1:4
	v_add_nc_u32_e32 v24, 48, v24
	s_wait_loadcnt_dscnt 0x301
	v_fmac_f64_e32 v[18:19], v[26:27], v[30:31]
	s_wait_loadcnt 0x2
	s_delay_alu instid0(VALU_DEP_1) | instskip(SKIP_1) | instid1(VALU_DEP_1)
	v_fmac_f64_e32 v[18:19], v[28:29], v[40:41]
	s_wait_loadcnt_dscnt 0x100
	v_fmac_f64_e32 v[18:19], v[36:37], v[42:43]
	s_wait_loadcnt 0x0
	s_delay_alu instid0(VALU_DEP_1)
	v_fmac_f64_e32 v[18:19], v[38:39], v[44:45]
	s_cbranch_scc1 .LBB43_16
	s_branch .LBB43_11
.LBB43_17:                              ;   in Loop: Header=BB43_9 Depth=1
	s_or_b32 exec_lo, exec_lo, s23
.LBB43_18:                              ;   in Loop: Header=BB43_9 Depth=1
	s_delay_alu instid0(SALU_CYCLE_1) | instskip(NEXT) | instid1(SALU_CYCLE_1)
	s_or_b32 exec_lo, exec_lo, s22
	s_mov_b32 s2, exec_lo
	v_cmpx_gt_i64_e64 s[14:15], v[16:17]
	s_cbranch_execz .LBB43_8
; %bb.19:                               ;   in Loop: Header=BB43_9 Depth=1
	s_and_saveexec_b32 s22, s0
	s_delay_alu instid0(SALU_CYCLE_1)
	s_xor_b32 s22, exec_lo, s22
	s_cbranch_execz .LBB43_24
; %bb.20:                               ;   in Loop: Header=BB43_9 Depth=1
	s_and_b32 vcc_lo, exec_lo, s3
	s_mov_b32 s23, -1
	s_cbranch_vccz .LBB43_22
; %bb.21:                               ;   in Loop: Header=BB43_9 Depth=1
	v_lshl_add_u64 v[20:21], v[16:17], 3, v[10:11]
	v_mul_f64_e32 v[24:25], v[2:3], v[18:19]
	s_mov_b32 s23, 0
	global_load_b64 v[22:23], v[20:21], off
	s_wait_loadcnt 0x0
	v_fmac_f64_e32 v[24:25], v[4:5], v[22:23]
	global_store_b64 v[20:21], v[24:25], off
.LBB43_22:                              ;   in Loop: Header=BB43_9 Depth=1
	s_and_not1_b32 vcc_lo, exec_lo, s23
	s_cbranch_vccnz .LBB43_24
; %bb.23:                               ;   in Loop: Header=BB43_9 Depth=1
	v_mul_u64_e32 v[16:17], s[18:19], v[16:17]
	v_mul_f64_e32 v[18:19], v[2:3], v[18:19]
	s_delay_alu instid0(VALU_DEP_2)
	v_lshl_add_u64 v[16:17], v[16:17], 3, v[0:1]
	global_load_b64 v[20:21], v[16:17], off
	s_wait_loadcnt 0x0
	v_fmac_f64_e32 v[18:19], v[4:5], v[20:21]
	global_store_b64 v[16:17], v[18:19], off
                                        ; implicit-def: $vgpr16_vgpr17
                                        ; implicit-def: $vgpr18_vgpr19
.LBB43_24:                              ;   in Loop: Header=BB43_9 Depth=1
	s_wait_xcnt 0x0
	s_and_not1_saveexec_b32 s22, s22
	s_cbranch_execz .LBB43_8
; %bb.25:                               ;   in Loop: Header=BB43_9 Depth=1
	v_mul_f64_e32 v[18:19], v[2:3], v[18:19]
	s_and_b32 vcc_lo, exec_lo, s3
	s_mov_b32 s22, -1
	s_cbranch_vccz .LBB43_27
; %bb.26:                               ;   in Loop: Header=BB43_9 Depth=1
	v_lshl_add_u64 v[20:21], v[16:17], 3, v[10:11]
	s_mov_b32 s22, 0
	global_store_b64 v[20:21], v[18:19], off
.LBB43_27:                              ;   in Loop: Header=BB43_9 Depth=1
	s_and_not1_b32 vcc_lo, exec_lo, s22
	s_cbranch_vccnz .LBB43_8
; %bb.28:                               ;   in Loop: Header=BB43_9 Depth=1
	v_mul_u64_e32 v[16:17], s[18:19], v[16:17]
	s_delay_alu instid0(VALU_DEP_1)
	v_lshl_add_u64 v[16:17], v[16:17], 3, v[0:1]
	global_store_b64 v[16:17], v[18:19], off
	s_branch .LBB43_8
.LBB43_29:
	s_endpgm
	.section	.rodata,"a",@progbits
	.p2align	6, 0x0
	.amdhsa_kernel _ZN9rocsparseL29bsrmmnt_small_blockdim_kernelILj64ELj32ELj2EllddddEEv20rocsparse_direction_T3_S2_llNS_24const_host_device_scalarIT7_EEPKT2_PKS2_PKT4_PKT5_llS5_PT6_ll16rocsparse_order_21rocsparse_index_base_b
		.amdhsa_group_segment_fixed_size 2048
		.amdhsa_private_segment_fixed_size 0
		.amdhsa_kernarg_size 400
		.amdhsa_user_sgpr_count 2
		.amdhsa_user_sgpr_dispatch_ptr 0
		.amdhsa_user_sgpr_queue_ptr 0
		.amdhsa_user_sgpr_kernarg_segment_ptr 1
		.amdhsa_user_sgpr_dispatch_id 0
		.amdhsa_user_sgpr_kernarg_preload_length 0
		.amdhsa_user_sgpr_kernarg_preload_offset 0
		.amdhsa_user_sgpr_private_segment_size 0
		.amdhsa_wavefront_size32 1
		.amdhsa_uses_dynamic_stack 0
		.amdhsa_enable_private_segment 0
		.amdhsa_system_sgpr_workgroup_id_x 1
		.amdhsa_system_sgpr_workgroup_id_y 0
		.amdhsa_system_sgpr_workgroup_id_z 0
		.amdhsa_system_sgpr_workgroup_info 0
		.amdhsa_system_vgpr_workitem_id 0
		.amdhsa_next_free_vgpr 46
		.amdhsa_next_free_sgpr 25
		.amdhsa_named_barrier_count 0
		.amdhsa_reserve_vcc 1
		.amdhsa_float_round_mode_32 0
		.amdhsa_float_round_mode_16_64 0
		.amdhsa_float_denorm_mode_32 3
		.amdhsa_float_denorm_mode_16_64 3
		.amdhsa_fp16_overflow 0
		.amdhsa_memory_ordered 1
		.amdhsa_forward_progress 1
		.amdhsa_inst_pref_size 11
		.amdhsa_round_robin_scheduling 0
		.amdhsa_exception_fp_ieee_invalid_op 0
		.amdhsa_exception_fp_denorm_src 0
		.amdhsa_exception_fp_ieee_div_zero 0
		.amdhsa_exception_fp_ieee_overflow 0
		.amdhsa_exception_fp_ieee_underflow 0
		.amdhsa_exception_fp_ieee_inexact 0
		.amdhsa_exception_int_div_zero 0
	.end_amdhsa_kernel
	.section	.text._ZN9rocsparseL29bsrmmnt_small_blockdim_kernelILj64ELj32ELj2EllddddEEv20rocsparse_direction_T3_S2_llNS_24const_host_device_scalarIT7_EEPKT2_PKS2_PKT4_PKT5_llS5_PT6_ll16rocsparse_order_21rocsparse_index_base_b,"axG",@progbits,_ZN9rocsparseL29bsrmmnt_small_blockdim_kernelILj64ELj32ELj2EllddddEEv20rocsparse_direction_T3_S2_llNS_24const_host_device_scalarIT7_EEPKT2_PKS2_PKT4_PKT5_llS5_PT6_ll16rocsparse_order_21rocsparse_index_base_b,comdat
.Lfunc_end43:
	.size	_ZN9rocsparseL29bsrmmnt_small_blockdim_kernelILj64ELj32ELj2EllddddEEv20rocsparse_direction_T3_S2_llNS_24const_host_device_scalarIT7_EEPKT2_PKS2_PKT4_PKT5_llS5_PT6_ll16rocsparse_order_21rocsparse_index_base_b, .Lfunc_end43-_ZN9rocsparseL29bsrmmnt_small_blockdim_kernelILj64ELj32ELj2EllddddEEv20rocsparse_direction_T3_S2_llNS_24const_host_device_scalarIT7_EEPKT2_PKS2_PKT4_PKT5_llS5_PT6_ll16rocsparse_order_21rocsparse_index_base_b
                                        ; -- End function
	.set _ZN9rocsparseL29bsrmmnt_small_blockdim_kernelILj64ELj32ELj2EllddddEEv20rocsparse_direction_T3_S2_llNS_24const_host_device_scalarIT7_EEPKT2_PKS2_PKT4_PKT5_llS5_PT6_ll16rocsparse_order_21rocsparse_index_base_b.num_vgpr, 46
	.set _ZN9rocsparseL29bsrmmnt_small_blockdim_kernelILj64ELj32ELj2EllddddEEv20rocsparse_direction_T3_S2_llNS_24const_host_device_scalarIT7_EEPKT2_PKS2_PKT4_PKT5_llS5_PT6_ll16rocsparse_order_21rocsparse_index_base_b.num_agpr, 0
	.set _ZN9rocsparseL29bsrmmnt_small_blockdim_kernelILj64ELj32ELj2EllddddEEv20rocsparse_direction_T3_S2_llNS_24const_host_device_scalarIT7_EEPKT2_PKS2_PKT4_PKT5_llS5_PT6_ll16rocsparse_order_21rocsparse_index_base_b.numbered_sgpr, 25
	.set _ZN9rocsparseL29bsrmmnt_small_blockdim_kernelILj64ELj32ELj2EllddddEEv20rocsparse_direction_T3_S2_llNS_24const_host_device_scalarIT7_EEPKT2_PKS2_PKT4_PKT5_llS5_PT6_ll16rocsparse_order_21rocsparse_index_base_b.num_named_barrier, 0
	.set _ZN9rocsparseL29bsrmmnt_small_blockdim_kernelILj64ELj32ELj2EllddddEEv20rocsparse_direction_T3_S2_llNS_24const_host_device_scalarIT7_EEPKT2_PKS2_PKT4_PKT5_llS5_PT6_ll16rocsparse_order_21rocsparse_index_base_b.private_seg_size, 0
	.set _ZN9rocsparseL29bsrmmnt_small_blockdim_kernelILj64ELj32ELj2EllddddEEv20rocsparse_direction_T3_S2_llNS_24const_host_device_scalarIT7_EEPKT2_PKS2_PKT4_PKT5_llS5_PT6_ll16rocsparse_order_21rocsparse_index_base_b.uses_vcc, 1
	.set _ZN9rocsparseL29bsrmmnt_small_blockdim_kernelILj64ELj32ELj2EllddddEEv20rocsparse_direction_T3_S2_llNS_24const_host_device_scalarIT7_EEPKT2_PKS2_PKT4_PKT5_llS5_PT6_ll16rocsparse_order_21rocsparse_index_base_b.uses_flat_scratch, 0
	.set _ZN9rocsparseL29bsrmmnt_small_blockdim_kernelILj64ELj32ELj2EllddddEEv20rocsparse_direction_T3_S2_llNS_24const_host_device_scalarIT7_EEPKT2_PKS2_PKT4_PKT5_llS5_PT6_ll16rocsparse_order_21rocsparse_index_base_b.has_dyn_sized_stack, 0
	.set _ZN9rocsparseL29bsrmmnt_small_blockdim_kernelILj64ELj32ELj2EllddddEEv20rocsparse_direction_T3_S2_llNS_24const_host_device_scalarIT7_EEPKT2_PKS2_PKT4_PKT5_llS5_PT6_ll16rocsparse_order_21rocsparse_index_base_b.has_recursion, 0
	.set _ZN9rocsparseL29bsrmmnt_small_blockdim_kernelILj64ELj32ELj2EllddddEEv20rocsparse_direction_T3_S2_llNS_24const_host_device_scalarIT7_EEPKT2_PKS2_PKT4_PKT5_llS5_PT6_ll16rocsparse_order_21rocsparse_index_base_b.has_indirect_call, 0
	.section	.AMDGPU.csdata,"",@progbits
; Kernel info:
; codeLenInByte = 1288
; TotalNumSgprs: 27
; NumVgprs: 46
; ScratchSize: 0
; MemoryBound: 0
; FloatMode: 240
; IeeeMode: 1
; LDSByteSize: 2048 bytes/workgroup (compile time only)
; SGPRBlocks: 0
; VGPRBlocks: 2
; NumSGPRsForWavesPerEU: 27
; NumVGPRsForWavesPerEU: 46
; NamedBarCnt: 0
; Occupancy: 16
; WaveLimiterHint : 1
; COMPUTE_PGM_RSRC2:SCRATCH_EN: 0
; COMPUTE_PGM_RSRC2:USER_SGPR: 2
; COMPUTE_PGM_RSRC2:TRAP_HANDLER: 0
; COMPUTE_PGM_RSRC2:TGID_X_EN: 1
; COMPUTE_PGM_RSRC2:TGID_Y_EN: 0
; COMPUTE_PGM_RSRC2:TGID_Z_EN: 0
; COMPUTE_PGM_RSRC2:TIDIG_COMP_CNT: 0
	.section	.text._ZN9rocsparseL29bsrmmnt_small_blockdim_kernelILj64ELj64ELj2EllddddEEv20rocsparse_direction_T3_S2_llNS_24const_host_device_scalarIT7_EEPKT2_PKS2_PKT4_PKT5_llS5_PT6_ll16rocsparse_order_21rocsparse_index_base_b,"axG",@progbits,_ZN9rocsparseL29bsrmmnt_small_blockdim_kernelILj64ELj64ELj2EllddddEEv20rocsparse_direction_T3_S2_llNS_24const_host_device_scalarIT7_EEPKT2_PKS2_PKT4_PKT5_llS5_PT6_ll16rocsparse_order_21rocsparse_index_base_b,comdat
	.globl	_ZN9rocsparseL29bsrmmnt_small_blockdim_kernelILj64ELj64ELj2EllddddEEv20rocsparse_direction_T3_S2_llNS_24const_host_device_scalarIT7_EEPKT2_PKS2_PKT4_PKT5_llS5_PT6_ll16rocsparse_order_21rocsparse_index_base_b ; -- Begin function _ZN9rocsparseL29bsrmmnt_small_blockdim_kernelILj64ELj64ELj2EllddddEEv20rocsparse_direction_T3_S2_llNS_24const_host_device_scalarIT7_EEPKT2_PKS2_PKT4_PKT5_llS5_PT6_ll16rocsparse_order_21rocsparse_index_base_b
	.p2align	8
	.type	_ZN9rocsparseL29bsrmmnt_small_blockdim_kernelILj64ELj64ELj2EllddddEEv20rocsparse_direction_T3_S2_llNS_24const_host_device_scalarIT7_EEPKT2_PKS2_PKT4_PKT5_llS5_PT6_ll16rocsparse_order_21rocsparse_index_base_b,@function
_ZN9rocsparseL29bsrmmnt_small_blockdim_kernelILj64ELj64ELj2EllddddEEv20rocsparse_direction_T3_S2_llNS_24const_host_device_scalarIT7_EEPKT2_PKS2_PKT4_PKT5_llS5_PT6_ll16rocsparse_order_21rocsparse_index_base_b: ; @_ZN9rocsparseL29bsrmmnt_small_blockdim_kernelILj64ELj64ELj2EllddddEEv20rocsparse_direction_T3_S2_llNS_24const_host_device_scalarIT7_EEPKT2_PKS2_PKT4_PKT5_llS5_PT6_ll16rocsparse_order_21rocsparse_index_base_b
; %bb.0:
	s_clause 0x2
	s_load_b96 s[20:22], s[0:1], 0x80
	s_load_b64 s[4:5], s[0:1], 0x28
	s_load_b64 s[2:3], s[0:1], 0x60
	s_wait_kmcnt 0x0
	s_bitcmp1_b32 s22, 0
	v_mov_b64_e32 v[2:3], s[4:5]
	s_cselect_b32 s6, -1, 0
	s_delay_alu instid0(SALU_CYCLE_1)
	s_and_b32 vcc_lo, exec_lo, s6
	s_xor_b32 s6, s6, -1
	s_cbranch_vccnz .LBB44_2
; %bb.1:
	v_mov_b32_e32 v1, 0
	flat_load_b64 v[2:3], v1, s[4:5]
.LBB44_2:
	v_mov_b64_e32 v[4:5], s[2:3]
	s_and_not1_b32 vcc_lo, exec_lo, s6
	s_cbranch_vccnz .LBB44_4
; %bb.3:
	s_wait_xcnt 0x0
	v_mov_b32_e32 v1, 0
	flat_load_b64 v[4:5], v1, s[2:3]
.LBB44_4:
	s_wait_loadcnt_dscnt 0x0
	v_cmp_neq_f64_e32 vcc_lo, 0, v[2:3]
	s_delay_alu instid0(VALU_DEP_2) | instskip(SKIP_1) | instid1(SALU_CYCLE_1)
	v_cmp_neq_f64_e64 s2, 1.0, v[4:5]
	s_or_b32 s2, vcc_lo, s2
	s_and_saveexec_b32 s3, s2
	s_cbranch_execz .LBB44_29
; %bb.5:
	s_clause 0x1
	s_load_b32 s2, s[0:1], 0x9c
	s_load_b128 s[12:15], s[0:1], 0x8
	s_bfe_u32 s3, ttmp6, 0x4000c
	s_and_b32 s4, ttmp6, 15
	s_add_co_i32 s3, s3, 1
	s_getreg_b32 s5, hwreg(HW_REG_IB_STS2, 6, 4)
	s_mul_i32 s3, ttmp9, s3
	s_delay_alu instid0(SALU_CYCLE_1) | instskip(SKIP_4) | instid1(SALU_CYCLE_1)
	s_add_co_i32 s4, s4, s3
	s_wait_kmcnt 0x0
	s_and_b32 s2, s2, 0xffff
	s_cmp_eq_u32 s5, 0
	s_cselect_b32 s3, ttmp9, s4
	v_mad_u32 v1, s3, s2, v0
	s_delay_alu instid0(VALU_DEP_1) | instskip(NEXT) | instid1(VALU_DEP_1)
	v_dual_mov_b32 v7, 0 :: v_dual_lshrrev_b32 v6, 7, v1
	v_cmp_gt_i64_e32 vcc_lo, s[12:13], v[6:7]
	s_and_b32 exec_lo, exec_lo, vcc_lo
	s_cbranch_execz .LBB44_29
; %bb.6:
	v_cmp_lt_i64_e64 s2, s[14:15], 1
	s_and_b32 vcc_lo, exec_lo, s2
	s_cbranch_vccnz .LBB44_29
; %bb.7:
	s_load_b256 s[4:11], s[0:1], 0x30
	v_dual_mov_b32 v7, 0 :: v_dual_lshlrev_b32 v6, 3, v6
	s_load_b128 s[16:19], s[0:1], 0x68
	s_cmp_lg_u32 s20, 1
	s_mov_b32 s13, 0
	s_mov_b32 s12, s21
	s_cselect_b32 s3, -1, 0
	v_lshl_or_b32 v32, v0, 3, 0x600
	v_mul_u32_u24_e32 v33, 24, v0
	v_dual_mov_b32 v13, v7 :: v_dual_mov_b32 v11, v7
	s_wait_kmcnt 0x0
	global_load_b128 v[14:17], v6, s[4:5]
	s_wait_xcnt 0x0
	v_lshrrev_b32_e32 v6, 6, v1
	s_load_b64 s[4:5], s[0:1], 0x50
	v_mov_b32_e32 v1, v7
	s_wait_xcnt 0x0
	s_load_b32 s1, s[0:1], 0x0
	s_wait_xcnt 0x0
	v_cmp_neq_f64_e64 s0, 0, v[4:5]
	v_mul_u64_e32 v[8:9], s[18:19], v[6:7]
	v_lshlrev_b32_e32 v10, 3, v6
	s_delay_alu instid0(VALU_DEP_1) | instskip(SKIP_1) | instid1(VALU_DEP_2)
	v_and_b32_e32 v12, 8, v10
	v_add_nc_u64_e32 v[6:7], s[16:17], v[10:11]
	v_add_nc_u64_e32 v[18:19], s[8:9], v[12:13]
	s_mov_b64 s[8:9], 0
	s_wait_kmcnt 0x0
	s_cmp_eq_u32 s1, 0
	s_delay_alu instid0(VALU_DEP_1) | instskip(SKIP_1) | instid1(SALU_CYCLE_1)
	v_add_nc_u64_e32 v[20:21], v[18:19], v[12:13]
	s_cselect_b32 vcc_lo, -1, 0
	s_and_b32 s2, vcc_lo, exec_lo
	v_lshl_add_u64 v[8:9], v[8:9], 3, s[16:17]
	s_cselect_b32 s16, 8, 16
	s_mov_b32 s17, s13
	s_lshl_b64 s[20:21], s[4:5], 3
	s_wait_loadcnt 0x0
	v_sub_nc_u64_e64 v[10:11], v[14:15], s[12:13]
	v_sub_nc_u64_e64 v[12:13], v[16:17], s[12:13]
	v_cmp_lt_i64_e64 s1, v[14:15], v[16:17]
	v_dual_cndmask_b32 v15, v19, v21 :: v_dual_cndmask_b32 v14, v18, v20
	s_branch .LBB44_9
.LBB44_8:                               ;   in Loop: Header=BB44_9 Depth=1
	s_wait_xcnt 0x0
	s_or_b32 exec_lo, exec_lo, s2
	s_add_nc_u64 s[8:9], s[8:9], 64
	s_delay_alu instid0(SALU_CYCLE_1)
	v_cmp_lt_i64_e64 s2, s[8:9], s[14:15]
	s_and_b32 vcc_lo, exec_lo, s2
	s_cbranch_vccz .LBB44_29
.LBB44_9:                               ; =>This Loop Header: Depth=1
                                        ;     Child Loop BB44_12 Depth 2
                                        ;       Child Loop BB44_16 Depth 3
	v_mov_b64_e32 v[18:19], 0
	v_dual_mov_b32 v17, s9 :: v_dual_bitop2_b32 v16, s8, v0 bitop3:0x54
	s_delay_alu instid0(VALU_DEP_4)
	s_and_saveexec_b32 s22, s1
	s_cbranch_execz .LBB44_18
; %bb.10:                               ;   in Loop: Header=BB44_9 Depth=1
	v_mov_b64_e32 v[18:19], 0
	v_mov_b64_e32 v[22:23], v[10:11]
	v_lshl_add_u64 v[20:21], v[16:17], 3, s[10:11]
	s_mov_b32 s23, 0
	v_cmp_gt_i64_e32 vcc_lo, s[14:15], v[16:17]
	s_branch .LBB44_12
.LBB44_11:                              ;   in Loop: Header=BB44_12 Depth=2
	s_or_b32 exec_lo, exec_lo, s2
	v_add_nc_u64_e32 v[22:23], 64, v[22:23]
	s_delay_alu instid0(VALU_DEP_1) | instskip(SKIP_1) | instid1(SALU_CYCLE_1)
	v_cmp_ge_i64_e64 s2, v[22:23], v[12:13]
	s_or_b32 s23, s2, s23
	s_and_not1_b32 exec_lo, exec_lo, s23
	s_cbranch_execz .LBB44_17
.LBB44_12:                              ;   Parent Loop BB44_9 Depth=1
                                        ; =>  This Loop Header: Depth=2
                                        ;       Child Loop BB44_16 Depth 3
	s_delay_alu instid0(VALU_DEP_3) | instskip(SKIP_4) | instid1(VALU_DEP_4)
	v_add_nc_u64_e32 v[30:31], v[22:23], v[0:1]
	v_mov_b64_e32 v[28:29], 0
	v_mov_b64_e32 v[24:25], 0
	;; [unrolled: 1-line block ×3, first 2 shown]
	s_mov_b32 s24, exec_lo
	v_cmpx_lt_i64_e64 v[30:31], v[12:13]
	s_cbranch_execz .LBB44_14
; %bb.13:                               ;   in Loop: Header=BB44_12 Depth=2
	v_lshlrev_b64_e32 v[24:25], 5, v[30:31]
	v_lshl_add_u64 v[26:27], v[30:31], 3, s[6:7]
	global_load_b64 v[28:29], v[26:27], off
	v_add_nc_u64_e32 v[30:31], v[14:15], v[24:25]
	s_delay_alu instid0(VALU_DEP_1)
	v_add_nc_u64_e32 v[34:35], s[16:17], v[30:31]
	s_clause 0x1
	global_load_b64 v[24:25], v[30:31], off
	global_load_b64 v[26:27], v[34:35], off
	s_wait_loadcnt 0x2
	v_sub_nc_u64_e64 v[28:29], v[28:29], s[12:13]
	s_delay_alu instid0(VALU_DEP_1)
	v_lshlrev_b64_e32 v[28:29], 1, v[28:29]
.LBB44_14:                              ;   in Loop: Header=BB44_12 Depth=2
	s_wait_xcnt 0x0
	s_or_b32 exec_lo, exec_lo, s24
	ds_store_b64 v32, v[28:29]
	s_wait_loadcnt 0x0
	ds_store_2addr_b64 v33, v[24:25], v[26:27] offset1:1
	s_wait_dscnt 0x0
	s_barrier_signal -1
	s_barrier_wait -1
	s_and_saveexec_b32 s2, vcc_lo
	s_cbranch_execz .LBB44_11
; %bb.15:                               ;   in Loop: Header=BB44_12 Depth=2
	v_mov_b32_e32 v24, 0
	s_mov_b32 s24, 0
.LBB44_16:                              ;   Parent Loop BB44_9 Depth=1
                                        ;     Parent Loop BB44_12 Depth=2
                                        ; =>    This Inner Loop Header: Depth=3
	s_delay_alu instid0(SALU_CYCLE_1) | instskip(SKIP_1) | instid1(SALU_CYCLE_1)
	v_add_nc_u32_e64 v25, 0x600, s24
	s_add_co_i32 s24, s24, 16
	s_cmp_lg_u32 s24, 0x200
	ds_load_b128 v[26:29], v25
	s_wait_dscnt 0x0
	v_mul_u64_e32 v[26:27], s[4:5], v[26:27]
	v_mul_u64_e32 v[28:29], s[4:5], v[28:29]
	s_delay_alu instid0(VALU_DEP_2)
	v_lshl_add_u64 v[26:27], v[26:27], 3, v[20:21]
	global_load_b64 v[30:31], v[26:27], off
	s_wait_xcnt 0x0
	v_add_nc_u64_e32 v[26:27], s[20:21], v[26:27]
	global_load_b64 v[38:39], v[26:27], off
	s_wait_xcnt 0x0
	v_lshl_add_u64 v[26:27], v[28:29], 3, v[20:21]
	global_load_b64 v[40:41], v[26:27], off
	s_wait_xcnt 0x0
	v_add_nc_u64_e32 v[26:27], s[20:21], v[26:27]
	global_load_b64 v[42:43], v[26:27], off
	s_wait_xcnt 0x0
	ds_load_b128 v[26:29], v24
	ds_load_2addr_b64 v[34:37], v24 offset0:3 offset1:4
	v_add_nc_u32_e32 v24, 48, v24
	s_wait_loadcnt_dscnt 0x301
	v_fmac_f64_e32 v[18:19], v[26:27], v[30:31]
	s_wait_loadcnt 0x2
	s_delay_alu instid0(VALU_DEP_1) | instskip(SKIP_1) | instid1(VALU_DEP_1)
	v_fmac_f64_e32 v[18:19], v[28:29], v[38:39]
	s_wait_loadcnt_dscnt 0x100
	v_fmac_f64_e32 v[18:19], v[34:35], v[40:41]
	s_wait_loadcnt 0x0
	s_delay_alu instid0(VALU_DEP_1)
	v_fmac_f64_e32 v[18:19], v[36:37], v[42:43]
	s_cbranch_scc1 .LBB44_16
	s_branch .LBB44_11
.LBB44_17:                              ;   in Loop: Header=BB44_9 Depth=1
	s_or_b32 exec_lo, exec_lo, s23
.LBB44_18:                              ;   in Loop: Header=BB44_9 Depth=1
	s_delay_alu instid0(SALU_CYCLE_1) | instskip(NEXT) | instid1(SALU_CYCLE_1)
	s_or_b32 exec_lo, exec_lo, s22
	s_mov_b32 s2, exec_lo
	v_cmpx_gt_i64_e64 s[14:15], v[16:17]
	s_cbranch_execz .LBB44_8
; %bb.19:                               ;   in Loop: Header=BB44_9 Depth=1
	s_and_saveexec_b32 s22, s0
	s_delay_alu instid0(SALU_CYCLE_1)
	s_xor_b32 s22, exec_lo, s22
	s_cbranch_execz .LBB44_24
; %bb.20:                               ;   in Loop: Header=BB44_9 Depth=1
	s_and_b32 vcc_lo, exec_lo, s3
	s_mov_b32 s23, -1
	s_cbranch_vccz .LBB44_22
; %bb.21:                               ;   in Loop: Header=BB44_9 Depth=1
	v_lshl_add_u64 v[20:21], v[16:17], 3, v[8:9]
	v_mul_f64_e32 v[24:25], v[2:3], v[18:19]
	s_mov_b32 s23, 0
	global_load_b64 v[22:23], v[20:21], off
	s_wait_loadcnt 0x0
	v_fmac_f64_e32 v[24:25], v[4:5], v[22:23]
	global_store_b64 v[20:21], v[24:25], off
.LBB44_22:                              ;   in Loop: Header=BB44_9 Depth=1
	s_and_not1_b32 vcc_lo, exec_lo, s23
	s_cbranch_vccnz .LBB44_24
; %bb.23:                               ;   in Loop: Header=BB44_9 Depth=1
	v_mul_u64_e32 v[16:17], s[18:19], v[16:17]
	v_mul_f64_e32 v[18:19], v[2:3], v[18:19]
	s_delay_alu instid0(VALU_DEP_2)
	v_lshl_add_u64 v[16:17], v[16:17], 3, v[6:7]
	global_load_b64 v[20:21], v[16:17], off
	s_wait_loadcnt 0x0
	v_fmac_f64_e32 v[18:19], v[4:5], v[20:21]
	global_store_b64 v[16:17], v[18:19], off
                                        ; implicit-def: $vgpr16_vgpr17
                                        ; implicit-def: $vgpr18_vgpr19
.LBB44_24:                              ;   in Loop: Header=BB44_9 Depth=1
	s_wait_xcnt 0x0
	s_and_not1_saveexec_b32 s22, s22
	s_cbranch_execz .LBB44_8
; %bb.25:                               ;   in Loop: Header=BB44_9 Depth=1
	v_mul_f64_e32 v[18:19], v[2:3], v[18:19]
	s_and_b32 vcc_lo, exec_lo, s3
	s_mov_b32 s22, -1
	s_cbranch_vccz .LBB44_27
; %bb.26:                               ;   in Loop: Header=BB44_9 Depth=1
	v_lshl_add_u64 v[20:21], v[16:17], 3, v[8:9]
	s_mov_b32 s22, 0
	global_store_b64 v[20:21], v[18:19], off
.LBB44_27:                              ;   in Loop: Header=BB44_9 Depth=1
	s_and_not1_b32 vcc_lo, exec_lo, s22
	s_cbranch_vccnz .LBB44_8
; %bb.28:                               ;   in Loop: Header=BB44_9 Depth=1
	v_mul_u64_e32 v[16:17], s[18:19], v[16:17]
	s_delay_alu instid0(VALU_DEP_1)
	v_lshl_add_u64 v[16:17], v[16:17], 3, v[6:7]
	global_store_b64 v[16:17], v[18:19], off
	s_branch .LBB44_8
.LBB44_29:
	s_endpgm
	.section	.rodata,"a",@progbits
	.p2align	6, 0x0
	.amdhsa_kernel _ZN9rocsparseL29bsrmmnt_small_blockdim_kernelILj64ELj64ELj2EllddddEEv20rocsparse_direction_T3_S2_llNS_24const_host_device_scalarIT7_EEPKT2_PKS2_PKT4_PKT5_llS5_PT6_ll16rocsparse_order_21rocsparse_index_base_b
		.amdhsa_group_segment_fixed_size 2048
		.amdhsa_private_segment_fixed_size 0
		.amdhsa_kernarg_size 400
		.amdhsa_user_sgpr_count 2
		.amdhsa_user_sgpr_dispatch_ptr 0
		.amdhsa_user_sgpr_queue_ptr 0
		.amdhsa_user_sgpr_kernarg_segment_ptr 1
		.amdhsa_user_sgpr_dispatch_id 0
		.amdhsa_user_sgpr_kernarg_preload_length 0
		.amdhsa_user_sgpr_kernarg_preload_offset 0
		.amdhsa_user_sgpr_private_segment_size 0
		.amdhsa_wavefront_size32 1
		.amdhsa_uses_dynamic_stack 0
		.amdhsa_enable_private_segment 0
		.amdhsa_system_sgpr_workgroup_id_x 1
		.amdhsa_system_sgpr_workgroup_id_y 0
		.amdhsa_system_sgpr_workgroup_id_z 0
		.amdhsa_system_sgpr_workgroup_info 0
		.amdhsa_system_vgpr_workitem_id 0
		.amdhsa_next_free_vgpr 44
		.amdhsa_next_free_sgpr 25
		.amdhsa_named_barrier_count 0
		.amdhsa_reserve_vcc 1
		.amdhsa_float_round_mode_32 0
		.amdhsa_float_round_mode_16_64 0
		.amdhsa_float_denorm_mode_32 3
		.amdhsa_float_denorm_mode_16_64 3
		.amdhsa_fp16_overflow 0
		.amdhsa_memory_ordered 1
		.amdhsa_forward_progress 1
		.amdhsa_inst_pref_size 10
		.amdhsa_round_robin_scheduling 0
		.amdhsa_exception_fp_ieee_invalid_op 0
		.amdhsa_exception_fp_denorm_src 0
		.amdhsa_exception_fp_ieee_div_zero 0
		.amdhsa_exception_fp_ieee_overflow 0
		.amdhsa_exception_fp_ieee_underflow 0
		.amdhsa_exception_fp_ieee_inexact 0
		.amdhsa_exception_int_div_zero 0
	.end_amdhsa_kernel
	.section	.text._ZN9rocsparseL29bsrmmnt_small_blockdim_kernelILj64ELj64ELj2EllddddEEv20rocsparse_direction_T3_S2_llNS_24const_host_device_scalarIT7_EEPKT2_PKS2_PKT4_PKT5_llS5_PT6_ll16rocsparse_order_21rocsparse_index_base_b,"axG",@progbits,_ZN9rocsparseL29bsrmmnt_small_blockdim_kernelILj64ELj64ELj2EllddddEEv20rocsparse_direction_T3_S2_llNS_24const_host_device_scalarIT7_EEPKT2_PKS2_PKT4_PKT5_llS5_PT6_ll16rocsparse_order_21rocsparse_index_base_b,comdat
.Lfunc_end44:
	.size	_ZN9rocsparseL29bsrmmnt_small_blockdim_kernelILj64ELj64ELj2EllddddEEv20rocsparse_direction_T3_S2_llNS_24const_host_device_scalarIT7_EEPKT2_PKS2_PKT4_PKT5_llS5_PT6_ll16rocsparse_order_21rocsparse_index_base_b, .Lfunc_end44-_ZN9rocsparseL29bsrmmnt_small_blockdim_kernelILj64ELj64ELj2EllddddEEv20rocsparse_direction_T3_S2_llNS_24const_host_device_scalarIT7_EEPKT2_PKS2_PKT4_PKT5_llS5_PT6_ll16rocsparse_order_21rocsparse_index_base_b
                                        ; -- End function
	.set _ZN9rocsparseL29bsrmmnt_small_blockdim_kernelILj64ELj64ELj2EllddddEEv20rocsparse_direction_T3_S2_llNS_24const_host_device_scalarIT7_EEPKT2_PKS2_PKT4_PKT5_llS5_PT6_ll16rocsparse_order_21rocsparse_index_base_b.num_vgpr, 44
	.set _ZN9rocsparseL29bsrmmnt_small_blockdim_kernelILj64ELj64ELj2EllddddEEv20rocsparse_direction_T3_S2_llNS_24const_host_device_scalarIT7_EEPKT2_PKS2_PKT4_PKT5_llS5_PT6_ll16rocsparse_order_21rocsparse_index_base_b.num_agpr, 0
	.set _ZN9rocsparseL29bsrmmnt_small_blockdim_kernelILj64ELj64ELj2EllddddEEv20rocsparse_direction_T3_S2_llNS_24const_host_device_scalarIT7_EEPKT2_PKS2_PKT4_PKT5_llS5_PT6_ll16rocsparse_order_21rocsparse_index_base_b.numbered_sgpr, 25
	.set _ZN9rocsparseL29bsrmmnt_small_blockdim_kernelILj64ELj64ELj2EllddddEEv20rocsparse_direction_T3_S2_llNS_24const_host_device_scalarIT7_EEPKT2_PKS2_PKT4_PKT5_llS5_PT6_ll16rocsparse_order_21rocsparse_index_base_b.num_named_barrier, 0
	.set _ZN9rocsparseL29bsrmmnt_small_blockdim_kernelILj64ELj64ELj2EllddddEEv20rocsparse_direction_T3_S2_llNS_24const_host_device_scalarIT7_EEPKT2_PKS2_PKT4_PKT5_llS5_PT6_ll16rocsparse_order_21rocsparse_index_base_b.private_seg_size, 0
	.set _ZN9rocsparseL29bsrmmnt_small_blockdim_kernelILj64ELj64ELj2EllddddEEv20rocsparse_direction_T3_S2_llNS_24const_host_device_scalarIT7_EEPKT2_PKS2_PKT4_PKT5_llS5_PT6_ll16rocsparse_order_21rocsparse_index_base_b.uses_vcc, 1
	.set _ZN9rocsparseL29bsrmmnt_small_blockdim_kernelILj64ELj64ELj2EllddddEEv20rocsparse_direction_T3_S2_llNS_24const_host_device_scalarIT7_EEPKT2_PKS2_PKT4_PKT5_llS5_PT6_ll16rocsparse_order_21rocsparse_index_base_b.uses_flat_scratch, 0
	.set _ZN9rocsparseL29bsrmmnt_small_blockdim_kernelILj64ELj64ELj2EllddddEEv20rocsparse_direction_T3_S2_llNS_24const_host_device_scalarIT7_EEPKT2_PKS2_PKT4_PKT5_llS5_PT6_ll16rocsparse_order_21rocsparse_index_base_b.has_dyn_sized_stack, 0
	.set _ZN9rocsparseL29bsrmmnt_small_blockdim_kernelILj64ELj64ELj2EllddddEEv20rocsparse_direction_T3_S2_llNS_24const_host_device_scalarIT7_EEPKT2_PKS2_PKT4_PKT5_llS5_PT6_ll16rocsparse_order_21rocsparse_index_base_b.has_recursion, 0
	.set _ZN9rocsparseL29bsrmmnt_small_blockdim_kernelILj64ELj64ELj2EllddddEEv20rocsparse_direction_T3_S2_llNS_24const_host_device_scalarIT7_EEPKT2_PKS2_PKT4_PKT5_llS5_PT6_ll16rocsparse_order_21rocsparse_index_base_b.has_indirect_call, 0
	.section	.AMDGPU.csdata,"",@progbits
; Kernel info:
; codeLenInByte = 1264
; TotalNumSgprs: 27
; NumVgprs: 44
; ScratchSize: 0
; MemoryBound: 0
; FloatMode: 240
; IeeeMode: 1
; LDSByteSize: 2048 bytes/workgroup (compile time only)
; SGPRBlocks: 0
; VGPRBlocks: 2
; NumSGPRsForWavesPerEU: 27
; NumVGPRsForWavesPerEU: 44
; NamedBarCnt: 0
; Occupancy: 16
; WaveLimiterHint : 1
; COMPUTE_PGM_RSRC2:SCRATCH_EN: 0
; COMPUTE_PGM_RSRC2:USER_SGPR: 2
; COMPUTE_PGM_RSRC2:TRAP_HANDLER: 0
; COMPUTE_PGM_RSRC2:TGID_X_EN: 1
; COMPUTE_PGM_RSRC2:TGID_Y_EN: 0
; COMPUTE_PGM_RSRC2:TGID_Z_EN: 0
; COMPUTE_PGM_RSRC2:TIDIG_COMP_CNT: 0
	.section	.text._ZN9rocsparseL29bsrmmnt_small_blockdim_kernelILj64ELj8ELj2Eii21rocsparse_complex_numIfES2_S2_S2_EEv20rocsparse_direction_T3_S4_llNS_24const_host_device_scalarIT7_EEPKT2_PKS4_PKT4_PKT5_llS7_PT6_ll16rocsparse_order_21rocsparse_index_base_b,"axG",@progbits,_ZN9rocsparseL29bsrmmnt_small_blockdim_kernelILj64ELj8ELj2Eii21rocsparse_complex_numIfES2_S2_S2_EEv20rocsparse_direction_T3_S4_llNS_24const_host_device_scalarIT7_EEPKT2_PKS4_PKT4_PKT5_llS7_PT6_ll16rocsparse_order_21rocsparse_index_base_b,comdat
	.globl	_ZN9rocsparseL29bsrmmnt_small_blockdim_kernelILj64ELj8ELj2Eii21rocsparse_complex_numIfES2_S2_S2_EEv20rocsparse_direction_T3_S4_llNS_24const_host_device_scalarIT7_EEPKT2_PKS4_PKT4_PKT5_llS7_PT6_ll16rocsparse_order_21rocsparse_index_base_b ; -- Begin function _ZN9rocsparseL29bsrmmnt_small_blockdim_kernelILj64ELj8ELj2Eii21rocsparse_complex_numIfES2_S2_S2_EEv20rocsparse_direction_T3_S4_llNS_24const_host_device_scalarIT7_EEPKT2_PKS4_PKT4_PKT5_llS7_PT6_ll16rocsparse_order_21rocsparse_index_base_b
	.p2align	8
	.type	_ZN9rocsparseL29bsrmmnt_small_blockdim_kernelILj64ELj8ELj2Eii21rocsparse_complex_numIfES2_S2_S2_EEv20rocsparse_direction_T3_S4_llNS_24const_host_device_scalarIT7_EEPKT2_PKS4_PKT4_PKT5_llS7_PT6_ll16rocsparse_order_21rocsparse_index_base_b,@function
_ZN9rocsparseL29bsrmmnt_small_blockdim_kernelILj64ELj8ELj2Eii21rocsparse_complex_numIfES2_S2_S2_EEv20rocsparse_direction_T3_S4_llNS_24const_host_device_scalarIT7_EEPKT2_PKS4_PKT4_PKT5_llS7_PT6_ll16rocsparse_order_21rocsparse_index_base_b: ; @_ZN9rocsparseL29bsrmmnt_small_blockdim_kernelILj64ELj8ELj2Eii21rocsparse_complex_numIfES2_S2_S2_EEv20rocsparse_direction_T3_S4_llNS_24const_host_device_scalarIT7_EEPKT2_PKS4_PKT4_PKT5_llS7_PT6_ll16rocsparse_order_21rocsparse_index_base_b
; %bb.0:
	s_clause 0x2
	s_load_b96 s[16:18], s[0:1], 0x78
	s_load_b64 s[2:3], s[0:1], 0x20
	s_load_b64 s[4:5], s[0:1], 0x58
	v_mov_b32_e32 v1, 0
	s_add_nc_u64 s[6:7], s[0:1], 32
	s_add_nc_u64 s[8:9], s[0:1], 0x58
	s_wait_kmcnt 0x0
	s_bitcmp1_b32 s18, 0
	s_cselect_b32 s3, s7, s3
	s_cselect_b32 s2, s6, s2
	s_cselect_b32 s5, s9, s5
	s_cselect_b32 s4, s8, s4
	s_clause 0x1
	flat_load_b64 v[2:3], v1, s[2:3]
	flat_load_b64 v[4:5], v1, s[4:5]
	s_wait_loadcnt_dscnt 0x101
	s_wait_xcnt 0x1
	v_cmp_eq_f32_e64 s2, 0, v2
	v_cmp_eq_f32_e64 s3, 0, v3
	s_wait_loadcnt_dscnt 0x0
	v_cmp_eq_f32_e64 s4, 1.0, v4
	v_cmp_eq_f32_e32 vcc_lo, 0, v5
	s_and_b32 s2, s2, s3
	s_and_b32 s3, s4, vcc_lo
	s_delay_alu instid0(SALU_CYCLE_1) | instskip(NEXT) | instid1(SALU_CYCLE_1)
	s_and_b32 s2, s2, s3
	s_xor_b32 s2, s2, -1
	s_delay_alu instid0(SALU_CYCLE_1)
	s_and_saveexec_b32 s3, s2
	s_cbranch_execz .LBB45_25
; %bb.1:
	s_clause 0x1
	s_load_b32 s2, s[0:1], 0x94
	s_load_b96 s[20:22], s[0:1], 0x0
	s_bfe_u32 s3, ttmp6, 0x4000c
	s_and_b32 s4, ttmp6, 15
	s_add_co_i32 s3, s3, 1
	s_getreg_b32 s5, hwreg(HW_REG_IB_STS2, 6, 4)
	s_mul_i32 s3, ttmp9, s3
	s_delay_alu instid0(SALU_CYCLE_1) | instskip(SKIP_4) | instid1(SALU_CYCLE_1)
	s_add_co_i32 s4, s4, s3
	s_wait_kmcnt 0x0
	s_and_b32 s2, s2, 0xffff
	s_cmp_eq_u32 s5, 0
	s_cselect_b32 s3, ttmp9, s4
	v_mad_u32 v8, s3, s2, v0
	s_delay_alu instid0(VALU_DEP_1) | instskip(NEXT) | instid1(VALU_DEP_1)
	v_lshrrev_b32_e32 v1, 4, v8
	v_cmp_gt_i32_e64 s2, s21, v1
	s_and_b32 exec_lo, exec_lo, s2
	s_cbranch_execz .LBB45_25
; %bb.2:
	s_cmp_lt_i32 s22, 1
	s_cbranch_scc1 .LBB45_25
; %bb.3:
	s_load_b256 s[4:11], s[0:1], 0x28
	v_dual_lshlrev_b32 v1, 2, v1 :: v_dual_lshrrev_b32 v10, 3, v8
	s_clause 0x1
	s_load_b128 s[12:15], s[0:1], 0x60
	s_load_b64 s[2:3], s[0:1], 0x48
	v_dual_mov_b32 v11, 0 :: v_dual_bitop2_b32 v22, 7, v0 bitop3:0x40
	v_bfe_u32 v9, v8, 3, 1
	s_cmp_eq_u32 s20, 0
	s_wait_xcnt 0x0
	v_cmp_neq_f32_e64 s0, 0, v4
	v_mov_b32_e32 v7, v4
	s_cselect_b32 s1, -1, 0
	v_dual_lshlrev_b32 v17, 1, v9 :: v_dual_bitop2_b32 v16, 2, v9 bitop3:0x54
	v_mul_u32_u24_e32 v18, 24, v22
	v_xor_b32_e32 v6, 0x80000000, v5
	s_wait_kmcnt 0x0
	global_load_b64 v[12:13], v1, s[4:5]
	s_wait_xcnt 0x0
	v_mov_b32_e32 v1, v2
	s_xor_b32 s4, vcc_lo, -1
	v_mul_u64_e32 v[14:15], s[14:15], v[10:11]
	v_lshrrev_b32_e32 v10, 3, v0
	v_xor_b32_e32 v0, 0x80000000, v3
	s_or_b32 s4, s0, s4
	s_cmp_lg_u32 s16, 1
	s_mov_b32 s5, 0
	v_lshl_or_b32 v23, v10, 5, 0x600
	v_mul_u32_u24_e32 v24, 0xc0, v10
	v_and_b32_e32 v10, -8, v8
	v_dual_cndmask_b32 v26, v9, v17, s1 :: v_dual_bitop2_b32 v19, 1, v17 bitop3:0x54
	s_delay_alu instid0(VALU_DEP_4) | instskip(NEXT) | instid1(VALU_DEP_4)
	v_lshl_or_b32 v25, v22, 2, v23
	v_add_nc_u32_e32 v30, v24, v18
	s_delay_alu instid0(VALU_DEP_4) | instskip(NEXT) | instid1(VALU_DEP_4)
	v_add_nc_u64_e32 v[8:9], s[12:13], v[10:11]
	v_cndmask_b32_e64 v27, v16, v19, s1
	v_lshl_add_u64 v[10:11], v[14:15], 3, s[12:13]
	s_cselect_b32 s12, -1, 0
	s_wait_loadcnt 0x0
	v_subrev_nc_u32_e32 v28, s17, v12
	v_subrev_nc_u32_e32 v29, s17, v13
	v_cmp_lt_i32_e64 s0, v12, v13
	s_branch .LBB45_5
.LBB45_4:                               ;   in Loop: Header=BB45_5 Depth=1
	s_wait_xcnt 0x0
	s_or_b32 exec_lo, exec_lo, s1
	s_add_co_i32 s5, s5, 8
	s_delay_alu instid0(SALU_CYCLE_1)
	s_cmp_lt_i32 s5, s22
	s_cbranch_scc0 .LBB45_25
.LBB45_5:                               ; =>This Loop Header: Depth=1
                                        ;     Child Loop BB45_8 Depth 2
                                        ;       Child Loop BB45_12 Depth 3
	v_or_b32_e32 v12, s5, v22
	v_mov_b64_e32 v[14:15], 0
	s_delay_alu instid0(VALU_DEP_2)
	v_ashrrev_i32_e32 v13, 31, v12
	s_and_saveexec_b32 s13, s0
	s_cbranch_execz .LBB45_14
; %bb.6:                                ;   in Loop: Header=BB45_5 Depth=1
	v_mov_b64_e32 v[14:15], 0
	s_delay_alu instid0(VALU_DEP_2)
	v_lshl_add_u64 v[16:17], v[12:13], 3, s[10:11]
	v_mov_b32_e32 v31, v28
	s_mov_b32 s16, 0
	v_cmp_gt_i32_e32 vcc_lo, s22, v12
	s_branch .LBB45_8
.LBB45_7:                               ;   in Loop: Header=BB45_8 Depth=2
	s_or_b32 exec_lo, exec_lo, s1
	v_add_nc_u32_e32 v31, 8, v31
	s_delay_alu instid0(VALU_DEP_1) | instskip(SKIP_1) | instid1(SALU_CYCLE_1)
	v_cmp_ge_i32_e64 s1, v31, v29
	s_or_b32 s16, s1, s16
	s_and_not1_b32 exec_lo, exec_lo, s16
	s_cbranch_execz .LBB45_13
.LBB45_8:                               ;   Parent Loop BB45_5 Depth=1
                                        ; =>  This Loop Header: Depth=2
                                        ;       Child Loop BB45_12 Depth 3
	s_delay_alu instid0(VALU_DEP_2) | instskip(SKIP_3) | instid1(VALU_DEP_3)
	v_dual_mov_b32 v32, 0 :: v_dual_add_nc_u32 v33, v31, v22
	v_dual_mov_b32 v18, 0 :: v_dual_mov_b32 v19, 0
	v_dual_mov_b32 v20, 0 :: v_dual_mov_b32 v21, 0
	s_mov_b32 s18, exec_lo
	v_cmpx_lt_i32_e64 v33, v29
	s_cbranch_execz .LBB45_10
; %bb.9:                                ;   in Loop: Header=BB45_8 Depth=2
	global_load_b32 v32, v33, s[6:7] scale_offset
	s_wait_loadcnt 0x0
	v_subrev_nc_u32_e32 v32, s17, v32
	s_delay_alu instid0(VALU_DEP_1) | instskip(SKIP_1) | instid1(VALU_DEP_1)
	v_dual_lshlrev_b32 v18, 2, v33 :: v_dual_lshlrev_b32 v32, 1, v32
	s_wait_xcnt 0x0
	v_or_b32_e32 v33, v18, v26
	v_or_b32_e32 v34, v18, v27
	s_clause 0x1
	global_load_b64 v[18:19], v33, s[8:9] scale_offset
	global_load_b64 v[20:21], v34, s[8:9] scale_offset
.LBB45_10:                              ;   in Loop: Header=BB45_8 Depth=2
	s_wait_xcnt 0x0
	s_or_b32 exec_lo, exec_lo, s18
	ds_store_b32 v25, v32
	s_wait_loadcnt 0x0
	ds_store_2addr_b64 v30, v[18:19], v[20:21] offset1:1
	s_wait_dscnt 0x0
	s_barrier_signal -1
	s_barrier_wait -1
	s_and_saveexec_b32 s1, vcc_lo
	s_cbranch_execz .LBB45_7
; %bb.11:                               ;   in Loop: Header=BB45_8 Depth=2
	v_mov_b32_e32 v18, v24
	s_mov_b32 s18, 0
.LBB45_12:                              ;   Parent Loop BB45_5 Depth=1
                                        ;     Parent Loop BB45_8 Depth=2
                                        ; =>    This Inner Loop Header: Depth=3
	s_delay_alu instid0(SALU_CYCLE_1) | instskip(SKIP_1) | instid1(SALU_CYCLE_1)
	v_add_nc_u32_e32 v19, s18, v23
	s_add_co_i32 s18, s18, 8
	s_cmp_lg_u32 s18, 32
	ds_load_b64 v[20:21], v19
	s_wait_dscnt 0x0
	v_dual_mov_b32 v32, v20 :: v_dual_ashrrev_i32 v33, 31, v20
	v_dual_add_nc_u32 v34, 1, v20 :: v_dual_mov_b32 v36, v21
	v_dual_add_nc_u32 v20, 1, v21 :: v_dual_ashrrev_i32 v37, 31, v21
	s_delay_alu instid0(VALU_DEP_3) | instskip(NEXT) | instid1(VALU_DEP_2)
	v_mul_u64_e32 v[32:33], s[2:3], v[32:33]
	v_dual_ashrrev_i32 v35, 31, v34 :: v_dual_ashrrev_i32 v21, 31, v20
	s_delay_alu instid0(VALU_DEP_3) | instskip(NEXT) | instid1(VALU_DEP_2)
	v_mul_u64_e32 v[36:37], s[2:3], v[36:37]
	v_mul_u64_e32 v[34:35], s[2:3], v[34:35]
	s_delay_alu instid0(VALU_DEP_3)
	v_mul_u64_e32 v[20:21], s[2:3], v[20:21]
	v_lshl_add_u64 v[32:33], v[32:33], 3, v[16:17]
	global_load_b64 v[40:41], v[32:33], off
	v_lshl_add_u64 v[20:21], v[20:21], 3, v[16:17]
	global_load_b64 v[20:21], v[20:21], off
	s_wait_xcnt 0x1
	v_lshl_add_u64 v[32:33], v[34:35], 3, v[16:17]
	global_load_b64 v[42:43], v[32:33], off
	s_wait_xcnt 0x0
	;; [unrolled: 3-line block ×3, first 2 shown]
	ds_load_b128 v[32:35], v18
	ds_load_2addr_b64 v[36:39], v18 offset0:3 offset1:4
	v_add_nc_u32_e32 v18, 48, v18
	s_wait_loadcnt_dscnt 0x301
	v_pk_fma_f32 v[14:15], v[32:33], v[40:41], v[14:15] op_sel_hi:[1,0,1]
	s_delay_alu instid0(VALU_DEP_1) | instskip(SKIP_3) | instid1(VALU_DEP_3)
	v_pk_fma_f32 v[14:15], v[32:33], v[40:41], v[14:15] op_sel:[1,1,0] op_sel_hi:[0,1,1] neg_lo:[1,0,0]
	v_xor_b32_e32 v32, 0x80000000, v35
	v_mov_b32_e32 v33, v34
	s_wait_loadcnt 0x1
	v_pk_fma_f32 v[14:15], v[34:35], v[42:43], v[14:15] op_sel_hi:[1,0,1]
	s_delay_alu instid0(VALU_DEP_1)
	v_pk_fma_f32 v[14:15], v[32:33], v[42:43], v[14:15] op_sel:[0,1,0]
	s_wait_dscnt 0x0
	v_xor_b32_e32 v32, 0x80000000, v39
	v_mov_b32_e32 v33, v38
	s_wait_loadcnt 0x0
	v_pk_fma_f32 v[14:15], v[36:37], v[44:45], v[14:15] op_sel_hi:[1,0,1]
	s_delay_alu instid0(VALU_DEP_1) | instskip(NEXT) | instid1(VALU_DEP_1)
	v_pk_fma_f32 v[14:15], v[36:37], v[44:45], v[14:15] op_sel:[1,1,0] op_sel_hi:[0,1,1] neg_lo:[1,0,0]
	v_pk_fma_f32 v[14:15], v[38:39], v[20:21], v[14:15] op_sel_hi:[1,0,1]
	s_delay_alu instid0(VALU_DEP_1)
	v_pk_fma_f32 v[14:15], v[32:33], v[20:21], v[14:15] op_sel:[0,1,0]
	s_cbranch_scc1 .LBB45_12
	s_branch .LBB45_7
.LBB45_13:                              ;   in Loop: Header=BB45_5 Depth=1
	s_or_b32 exec_lo, exec_lo, s16
.LBB45_14:                              ;   in Loop: Header=BB45_5 Depth=1
	s_delay_alu instid0(SALU_CYCLE_1) | instskip(NEXT) | instid1(SALU_CYCLE_1)
	s_or_b32 exec_lo, exec_lo, s13
	s_mov_b32 s1, exec_lo
	v_cmpx_gt_i32_e64 s22, v12
	s_cbranch_execz .LBB45_4
; %bb.15:                               ;   in Loop: Header=BB45_5 Depth=1
	s_and_saveexec_b32 s13, s4
	s_delay_alu instid0(SALU_CYCLE_1)
	s_xor_b32 s13, exec_lo, s13
	s_cbranch_execz .LBB45_20
; %bb.16:                               ;   in Loop: Header=BB45_5 Depth=1
	s_and_b32 vcc_lo, exec_lo, s12
	s_mov_b32 s16, -1
	s_cbranch_vccz .LBB45_18
; %bb.17:                               ;   in Loop: Header=BB45_5 Depth=1
	v_lshl_add_u64 v[16:17], v[12:13], 3, v[10:11]
	v_pk_mul_f32 v[20:21], v[14:15], v[0:1] op_sel:[1,0]
	s_mov_b32 s16, 0
	global_load_b64 v[18:19], v[16:17], off
	v_pk_fma_f32 v[20:21], v[2:3], v[14:15], v[20:21] op_sel_hi:[1,0,1]
	s_wait_loadcnt 0x0
	s_delay_alu instid0(VALU_DEP_1) | instskip(NEXT) | instid1(VALU_DEP_1)
	v_pk_fma_f32 v[20:21], v[4:5], v[18:19], v[20:21] op_sel_hi:[1,0,1]
	v_pk_fma_f32 v[18:19], v[6:7], v[18:19], v[20:21] op_sel:[0,1,0]
	global_store_b64 v[16:17], v[18:19], off
.LBB45_18:                              ;   in Loop: Header=BB45_5 Depth=1
	s_and_not1_b32 vcc_lo, exec_lo, s16
	s_cbranch_vccnz .LBB45_20
; %bb.19:                               ;   in Loop: Header=BB45_5 Depth=1
	v_mul_u64_e32 v[12:13], s[14:15], v[12:13]
	s_wait_xcnt 0x0
	v_pk_mul_f32 v[18:19], v[14:15], v[0:1] op_sel:[1,0]
	s_delay_alu instid0(VALU_DEP_1) | instskip(NEXT) | instid1(VALU_DEP_3)
	v_pk_fma_f32 v[14:15], v[2:3], v[14:15], v[18:19] op_sel_hi:[1,0,1]
	v_lshl_add_u64 v[12:13], v[12:13], 3, v[8:9]
	global_load_b64 v[16:17], v[12:13], off
	s_wait_loadcnt 0x0
	v_pk_fma_f32 v[14:15], v[4:5], v[16:17], v[14:15] op_sel_hi:[1,0,1]
	s_delay_alu instid0(VALU_DEP_1)
	v_pk_fma_f32 v[14:15], v[6:7], v[16:17], v[14:15] op_sel:[0,1,0]
	global_store_b64 v[12:13], v[14:15], off
                                        ; implicit-def: $vgpr14_vgpr15
                                        ; implicit-def: $vgpr12
.LBB45_20:                              ;   in Loop: Header=BB45_5 Depth=1
	s_wait_xcnt 0x0
	s_and_not1_saveexec_b32 s13, s13
	s_cbranch_execz .LBB45_4
; %bb.21:                               ;   in Loop: Header=BB45_5 Depth=1
	v_pk_mul_f32 v[16:17], v[14:15], v[0:1] op_sel:[1,0]
	s_and_b32 vcc_lo, exec_lo, s12
	s_mov_b32 s13, -1
	s_delay_alu instid0(VALU_DEP_1)
	v_pk_fma_f32 v[14:15], v[2:3], v[14:15], v[16:17] op_sel_hi:[1,0,1]
	s_cbranch_vccz .LBB45_23
; %bb.22:                               ;   in Loop: Header=BB45_5 Depth=1
	v_lshl_add_u64 v[16:17], v[12:13], 3, v[10:11]
	s_mov_b32 s13, 0
	global_store_b64 v[16:17], v[14:15], off
.LBB45_23:                              ;   in Loop: Header=BB45_5 Depth=1
	s_and_not1_b32 vcc_lo, exec_lo, s13
	s_cbranch_vccnz .LBB45_4
; %bb.24:                               ;   in Loop: Header=BB45_5 Depth=1
	v_mul_u64_e32 v[12:13], s[14:15], v[12:13]
	s_delay_alu instid0(VALU_DEP_1)
	v_lshl_add_u64 v[12:13], v[12:13], 3, v[8:9]
	global_store_b64 v[12:13], v[14:15], off
	s_branch .LBB45_4
.LBB45_25:
	s_endpgm
	.section	.rodata,"a",@progbits
	.p2align	6, 0x0
	.amdhsa_kernel _ZN9rocsparseL29bsrmmnt_small_blockdim_kernelILj64ELj8ELj2Eii21rocsparse_complex_numIfES2_S2_S2_EEv20rocsparse_direction_T3_S4_llNS_24const_host_device_scalarIT7_EEPKT2_PKS4_PKT4_PKT5_llS7_PT6_ll16rocsparse_order_21rocsparse_index_base_b
		.amdhsa_group_segment_fixed_size 1792
		.amdhsa_private_segment_fixed_size 0
		.amdhsa_kernarg_size 392
		.amdhsa_user_sgpr_count 2
		.amdhsa_user_sgpr_dispatch_ptr 0
		.amdhsa_user_sgpr_queue_ptr 0
		.amdhsa_user_sgpr_kernarg_segment_ptr 1
		.amdhsa_user_sgpr_dispatch_id 0
		.amdhsa_user_sgpr_kernarg_preload_length 0
		.amdhsa_user_sgpr_kernarg_preload_offset 0
		.amdhsa_user_sgpr_private_segment_size 0
		.amdhsa_wavefront_size32 1
		.amdhsa_uses_dynamic_stack 0
		.amdhsa_enable_private_segment 0
		.amdhsa_system_sgpr_workgroup_id_x 1
		.amdhsa_system_sgpr_workgroup_id_y 0
		.amdhsa_system_sgpr_workgroup_id_z 0
		.amdhsa_system_sgpr_workgroup_info 0
		.amdhsa_system_vgpr_workitem_id 0
		.amdhsa_next_free_vgpr 46
		.amdhsa_next_free_sgpr 23
		.amdhsa_named_barrier_count 0
		.amdhsa_reserve_vcc 1
		.amdhsa_float_round_mode_32 0
		.amdhsa_float_round_mode_16_64 0
		.amdhsa_float_denorm_mode_32 3
		.amdhsa_float_denorm_mode_16_64 3
		.amdhsa_fp16_overflow 0
		.amdhsa_memory_ordered 1
		.amdhsa_forward_progress 1
		.amdhsa_inst_pref_size 12
		.amdhsa_round_robin_scheduling 0
		.amdhsa_exception_fp_ieee_invalid_op 0
		.amdhsa_exception_fp_denorm_src 0
		.amdhsa_exception_fp_ieee_div_zero 0
		.amdhsa_exception_fp_ieee_overflow 0
		.amdhsa_exception_fp_ieee_underflow 0
		.amdhsa_exception_fp_ieee_inexact 0
		.amdhsa_exception_int_div_zero 0
	.end_amdhsa_kernel
	.section	.text._ZN9rocsparseL29bsrmmnt_small_blockdim_kernelILj64ELj8ELj2Eii21rocsparse_complex_numIfES2_S2_S2_EEv20rocsparse_direction_T3_S4_llNS_24const_host_device_scalarIT7_EEPKT2_PKS4_PKT4_PKT5_llS7_PT6_ll16rocsparse_order_21rocsparse_index_base_b,"axG",@progbits,_ZN9rocsparseL29bsrmmnt_small_blockdim_kernelILj64ELj8ELj2Eii21rocsparse_complex_numIfES2_S2_S2_EEv20rocsparse_direction_T3_S4_llNS_24const_host_device_scalarIT7_EEPKT2_PKS4_PKT4_PKT5_llS7_PT6_ll16rocsparse_order_21rocsparse_index_base_b,comdat
.Lfunc_end45:
	.size	_ZN9rocsparseL29bsrmmnt_small_blockdim_kernelILj64ELj8ELj2Eii21rocsparse_complex_numIfES2_S2_S2_EEv20rocsparse_direction_T3_S4_llNS_24const_host_device_scalarIT7_EEPKT2_PKS4_PKT4_PKT5_llS7_PT6_ll16rocsparse_order_21rocsparse_index_base_b, .Lfunc_end45-_ZN9rocsparseL29bsrmmnt_small_blockdim_kernelILj64ELj8ELj2Eii21rocsparse_complex_numIfES2_S2_S2_EEv20rocsparse_direction_T3_S4_llNS_24const_host_device_scalarIT7_EEPKT2_PKS4_PKT4_PKT5_llS7_PT6_ll16rocsparse_order_21rocsparse_index_base_b
                                        ; -- End function
	.set _ZN9rocsparseL29bsrmmnt_small_blockdim_kernelILj64ELj8ELj2Eii21rocsparse_complex_numIfES2_S2_S2_EEv20rocsparse_direction_T3_S4_llNS_24const_host_device_scalarIT7_EEPKT2_PKS4_PKT4_PKT5_llS7_PT6_ll16rocsparse_order_21rocsparse_index_base_b.num_vgpr, 46
	.set _ZN9rocsparseL29bsrmmnt_small_blockdim_kernelILj64ELj8ELj2Eii21rocsparse_complex_numIfES2_S2_S2_EEv20rocsparse_direction_T3_S4_llNS_24const_host_device_scalarIT7_EEPKT2_PKS4_PKT4_PKT5_llS7_PT6_ll16rocsparse_order_21rocsparse_index_base_b.num_agpr, 0
	.set _ZN9rocsparseL29bsrmmnt_small_blockdim_kernelILj64ELj8ELj2Eii21rocsparse_complex_numIfES2_S2_S2_EEv20rocsparse_direction_T3_S4_llNS_24const_host_device_scalarIT7_EEPKT2_PKS4_PKT4_PKT5_llS7_PT6_ll16rocsparse_order_21rocsparse_index_base_b.numbered_sgpr, 23
	.set _ZN9rocsparseL29bsrmmnt_small_blockdim_kernelILj64ELj8ELj2Eii21rocsparse_complex_numIfES2_S2_S2_EEv20rocsparse_direction_T3_S4_llNS_24const_host_device_scalarIT7_EEPKT2_PKS4_PKT4_PKT5_llS7_PT6_ll16rocsparse_order_21rocsparse_index_base_b.num_named_barrier, 0
	.set _ZN9rocsparseL29bsrmmnt_small_blockdim_kernelILj64ELj8ELj2Eii21rocsparse_complex_numIfES2_S2_S2_EEv20rocsparse_direction_T3_S4_llNS_24const_host_device_scalarIT7_EEPKT2_PKS4_PKT4_PKT5_llS7_PT6_ll16rocsparse_order_21rocsparse_index_base_b.private_seg_size, 0
	.set _ZN9rocsparseL29bsrmmnt_small_blockdim_kernelILj64ELj8ELj2Eii21rocsparse_complex_numIfES2_S2_S2_EEv20rocsparse_direction_T3_S4_llNS_24const_host_device_scalarIT7_EEPKT2_PKS4_PKT4_PKT5_llS7_PT6_ll16rocsparse_order_21rocsparse_index_base_b.uses_vcc, 1
	.set _ZN9rocsparseL29bsrmmnt_small_blockdim_kernelILj64ELj8ELj2Eii21rocsparse_complex_numIfES2_S2_S2_EEv20rocsparse_direction_T3_S4_llNS_24const_host_device_scalarIT7_EEPKT2_PKS4_PKT4_PKT5_llS7_PT6_ll16rocsparse_order_21rocsparse_index_base_b.uses_flat_scratch, 1
	.set _ZN9rocsparseL29bsrmmnt_small_blockdim_kernelILj64ELj8ELj2Eii21rocsparse_complex_numIfES2_S2_S2_EEv20rocsparse_direction_T3_S4_llNS_24const_host_device_scalarIT7_EEPKT2_PKS4_PKT4_PKT5_llS7_PT6_ll16rocsparse_order_21rocsparse_index_base_b.has_dyn_sized_stack, 0
	.set _ZN9rocsparseL29bsrmmnt_small_blockdim_kernelILj64ELj8ELj2Eii21rocsparse_complex_numIfES2_S2_S2_EEv20rocsparse_direction_T3_S4_llNS_24const_host_device_scalarIT7_EEPKT2_PKS4_PKT4_PKT5_llS7_PT6_ll16rocsparse_order_21rocsparse_index_base_b.has_recursion, 0
	.set _ZN9rocsparseL29bsrmmnt_small_blockdim_kernelILj64ELj8ELj2Eii21rocsparse_complex_numIfES2_S2_S2_EEv20rocsparse_direction_T3_S4_llNS_24const_host_device_scalarIT7_EEPKT2_PKS4_PKT4_PKT5_llS7_PT6_ll16rocsparse_order_21rocsparse_index_base_b.has_indirect_call, 0
	.section	.AMDGPU.csdata,"",@progbits
; Kernel info:
; codeLenInByte = 1512
; TotalNumSgprs: 25
; NumVgprs: 46
; ScratchSize: 0
; MemoryBound: 0
; FloatMode: 240
; IeeeMode: 1
; LDSByteSize: 1792 bytes/workgroup (compile time only)
; SGPRBlocks: 0
; VGPRBlocks: 2
; NumSGPRsForWavesPerEU: 25
; NumVGPRsForWavesPerEU: 46
; NamedBarCnt: 0
; Occupancy: 16
; WaveLimiterHint : 0
; COMPUTE_PGM_RSRC2:SCRATCH_EN: 0
; COMPUTE_PGM_RSRC2:USER_SGPR: 2
; COMPUTE_PGM_RSRC2:TRAP_HANDLER: 0
; COMPUTE_PGM_RSRC2:TGID_X_EN: 1
; COMPUTE_PGM_RSRC2:TGID_Y_EN: 0
; COMPUTE_PGM_RSRC2:TGID_Z_EN: 0
; COMPUTE_PGM_RSRC2:TIDIG_COMP_CNT: 0
	.section	.text._ZN9rocsparseL29bsrmmnt_small_blockdim_kernelILj64ELj16ELj2Eii21rocsparse_complex_numIfES2_S2_S2_EEv20rocsparse_direction_T3_S4_llNS_24const_host_device_scalarIT7_EEPKT2_PKS4_PKT4_PKT5_llS7_PT6_ll16rocsparse_order_21rocsparse_index_base_b,"axG",@progbits,_ZN9rocsparseL29bsrmmnt_small_blockdim_kernelILj64ELj16ELj2Eii21rocsparse_complex_numIfES2_S2_S2_EEv20rocsparse_direction_T3_S4_llNS_24const_host_device_scalarIT7_EEPKT2_PKS4_PKT4_PKT5_llS7_PT6_ll16rocsparse_order_21rocsparse_index_base_b,comdat
	.globl	_ZN9rocsparseL29bsrmmnt_small_blockdim_kernelILj64ELj16ELj2Eii21rocsparse_complex_numIfES2_S2_S2_EEv20rocsparse_direction_T3_S4_llNS_24const_host_device_scalarIT7_EEPKT2_PKS4_PKT4_PKT5_llS7_PT6_ll16rocsparse_order_21rocsparse_index_base_b ; -- Begin function _ZN9rocsparseL29bsrmmnt_small_blockdim_kernelILj64ELj16ELj2Eii21rocsparse_complex_numIfES2_S2_S2_EEv20rocsparse_direction_T3_S4_llNS_24const_host_device_scalarIT7_EEPKT2_PKS4_PKT4_PKT5_llS7_PT6_ll16rocsparse_order_21rocsparse_index_base_b
	.p2align	8
	.type	_ZN9rocsparseL29bsrmmnt_small_blockdim_kernelILj64ELj16ELj2Eii21rocsparse_complex_numIfES2_S2_S2_EEv20rocsparse_direction_T3_S4_llNS_24const_host_device_scalarIT7_EEPKT2_PKS4_PKT4_PKT5_llS7_PT6_ll16rocsparse_order_21rocsparse_index_base_b,@function
_ZN9rocsparseL29bsrmmnt_small_blockdim_kernelILj64ELj16ELj2Eii21rocsparse_complex_numIfES2_S2_S2_EEv20rocsparse_direction_T3_S4_llNS_24const_host_device_scalarIT7_EEPKT2_PKS4_PKT4_PKT5_llS7_PT6_ll16rocsparse_order_21rocsparse_index_base_b: ; @_ZN9rocsparseL29bsrmmnt_small_blockdim_kernelILj64ELj16ELj2Eii21rocsparse_complex_numIfES2_S2_S2_EEv20rocsparse_direction_T3_S4_llNS_24const_host_device_scalarIT7_EEPKT2_PKS4_PKT4_PKT5_llS7_PT6_ll16rocsparse_order_21rocsparse_index_base_b
; %bb.0:
	s_clause 0x2
	s_load_b96 s[16:18], s[0:1], 0x78
	s_load_b64 s[2:3], s[0:1], 0x20
	s_load_b64 s[4:5], s[0:1], 0x58
	v_mov_b32_e32 v1, 0
	s_add_nc_u64 s[6:7], s[0:1], 32
	s_add_nc_u64 s[8:9], s[0:1], 0x58
	s_wait_kmcnt 0x0
	s_bitcmp1_b32 s18, 0
	s_cselect_b32 s3, s7, s3
	s_cselect_b32 s2, s6, s2
	;; [unrolled: 1-line block ×4, first 2 shown]
	s_clause 0x1
	flat_load_b64 v[2:3], v1, s[2:3]
	flat_load_b64 v[4:5], v1, s[4:5]
	s_wait_loadcnt_dscnt 0x101
	s_wait_xcnt 0x1
	v_cmp_eq_f32_e64 s2, 0, v2
	v_cmp_eq_f32_e64 s3, 0, v3
	s_wait_loadcnt_dscnt 0x0
	v_cmp_eq_f32_e64 s4, 1.0, v4
	v_cmp_eq_f32_e32 vcc_lo, 0, v5
	s_and_b32 s2, s2, s3
	s_and_b32 s3, s4, vcc_lo
	s_delay_alu instid0(SALU_CYCLE_1) | instskip(NEXT) | instid1(SALU_CYCLE_1)
	s_and_b32 s2, s2, s3
	s_xor_b32 s2, s2, -1
	s_delay_alu instid0(SALU_CYCLE_1)
	s_and_saveexec_b32 s3, s2
	s_cbranch_execz .LBB46_25
; %bb.1:
	s_clause 0x1
	s_load_b32 s2, s[0:1], 0x94
	s_load_b96 s[20:22], s[0:1], 0x0
	s_bfe_u32 s3, ttmp6, 0x4000c
	s_and_b32 s4, ttmp6, 15
	s_add_co_i32 s3, s3, 1
	s_getreg_b32 s5, hwreg(HW_REG_IB_STS2, 6, 4)
	s_mul_i32 s3, ttmp9, s3
	s_delay_alu instid0(SALU_CYCLE_1) | instskip(SKIP_4) | instid1(SALU_CYCLE_1)
	s_add_co_i32 s4, s4, s3
	s_wait_kmcnt 0x0
	s_and_b32 s2, s2, 0xffff
	s_cmp_eq_u32 s5, 0
	s_cselect_b32 s3, ttmp9, s4
	v_mad_u32 v1, s3, s2, v0
	s_delay_alu instid0(VALU_DEP_1) | instskip(NEXT) | instid1(VALU_DEP_1)
	v_lshrrev_b32_e32 v6, 5, v1
	v_cmp_gt_i32_e64 s2, s21, v6
	s_and_b32 exec_lo, exec_lo, s2
	s_cbranch_execz .LBB46_25
; %bb.2:
	s_cmp_lt_i32 s22, 1
	s_cbranch_scc1 .LBB46_25
; %bb.3:
	s_load_b256 s[4:11], s[0:1], 0x28
	v_dual_lshlrev_b32 v6, 2, v6 :: v_dual_lshrrev_b32 v8, 4, v1
	s_clause 0x1
	s_load_b128 s[12:15], s[0:1], 0x60
	s_load_b64 s[2:3], s[0:1], 0x48
	v_dual_mov_b32 v9, 0 :: v_dual_bitop2_b32 v22, 15, v0 bitop3:0x40
	v_bfe_u32 v14, v1, 4, 1
	v_dual_lshrrev_b32 v15, 4, v0 :: v_dual_mov_b32 v1, v2
	s_cmp_eq_u32 s20, 0
	s_wait_xcnt 0x0
	v_cmp_neq_f32_e64 s0, 0, v4
	v_dual_lshlrev_b32 v17, 1, v14 :: v_dual_mov_b32 v7, v4
	v_or_b32_e32 v16, 2, v14
	v_lshl_or_b32 v23, v15, 6, 0x600
	s_cselect_b32 s1, -1, 0
	v_mul_u32_u24_e32 v24, 0x180, v15
	v_mul_u32_u24_e32 v15, 24, v22
	v_xor_b32_e32 v0, 0x80000000, v3
	s_wait_kmcnt 0x0
	global_load_b64 v[12:13], v6, s[4:5]
	s_wait_xcnt 0x0
	s_xor_b32 s4, vcc_lo, -1
	v_xor_b32_e32 v6, 0x80000000, v5
	v_mul_u64_e32 v[10:11], s[14:15], v[8:9]
	v_dual_lshlrev_b32 v8, 3, v8 :: v_dual_bitop2_b32 v18, 1, v17 bitop3:0x54
	v_cndmask_b32_e64 v26, v14, v17, s1
	s_or_b32 s4, s0, s4
	v_lshl_or_b32 v25, v22, 2, v23
	s_delay_alu instid0(VALU_DEP_3)
	v_add_nc_u64_e32 v[8:9], s[12:13], v[8:9]
	v_cndmask_b32_e64 v27, v16, v18, s1
	v_add_nc_u32_e32 v30, v24, v15
	s_cmp_lg_u32 s16, 1
	s_mov_b32 s5, 0
	v_lshl_add_u64 v[10:11], v[10:11], 3, s[12:13]
	s_cselect_b32 s12, -1, 0
	s_wait_loadcnt 0x0
	v_subrev_nc_u32_e32 v28, s17, v12
	v_subrev_nc_u32_e32 v29, s17, v13
	v_cmp_lt_i32_e64 s0, v12, v13
	s_branch .LBB46_5
.LBB46_4:                               ;   in Loop: Header=BB46_5 Depth=1
	s_wait_xcnt 0x0
	s_or_b32 exec_lo, exec_lo, s1
	s_add_co_i32 s5, s5, 16
	s_delay_alu instid0(SALU_CYCLE_1)
	s_cmp_lt_i32 s5, s22
	s_cbranch_scc0 .LBB46_25
.LBB46_5:                               ; =>This Loop Header: Depth=1
                                        ;     Child Loop BB46_8 Depth 2
                                        ;       Child Loop BB46_12 Depth 3
	v_or_b32_e32 v12, s5, v22
	v_mov_b64_e32 v[14:15], 0
	s_delay_alu instid0(VALU_DEP_2)
	v_ashrrev_i32_e32 v13, 31, v12
	s_and_saveexec_b32 s13, s0
	s_cbranch_execz .LBB46_14
; %bb.6:                                ;   in Loop: Header=BB46_5 Depth=1
	v_mov_b64_e32 v[14:15], 0
	s_delay_alu instid0(VALU_DEP_2)
	v_lshl_add_u64 v[16:17], v[12:13], 3, s[10:11]
	v_mov_b32_e32 v31, v28
	s_mov_b32 s16, 0
	v_cmp_gt_i32_e32 vcc_lo, s22, v12
	s_branch .LBB46_8
.LBB46_7:                               ;   in Loop: Header=BB46_8 Depth=2
	s_or_b32 exec_lo, exec_lo, s1
	v_add_nc_u32_e32 v31, 16, v31
	s_delay_alu instid0(VALU_DEP_1) | instskip(SKIP_1) | instid1(SALU_CYCLE_1)
	v_cmp_ge_i32_e64 s1, v31, v29
	s_or_b32 s16, s1, s16
	s_and_not1_b32 exec_lo, exec_lo, s16
	s_cbranch_execz .LBB46_13
.LBB46_8:                               ;   Parent Loop BB46_5 Depth=1
                                        ; =>  This Loop Header: Depth=2
                                        ;       Child Loop BB46_12 Depth 3
	s_delay_alu instid0(VALU_DEP_2) | instskip(SKIP_3) | instid1(VALU_DEP_3)
	v_dual_mov_b32 v32, 0 :: v_dual_add_nc_u32 v33, v31, v22
	v_dual_mov_b32 v18, 0 :: v_dual_mov_b32 v19, 0
	v_dual_mov_b32 v20, 0 :: v_dual_mov_b32 v21, 0
	s_mov_b32 s18, exec_lo
	v_cmpx_lt_i32_e64 v33, v29
	s_cbranch_execz .LBB46_10
; %bb.9:                                ;   in Loop: Header=BB46_8 Depth=2
	global_load_b32 v32, v33, s[6:7] scale_offset
	s_wait_loadcnt 0x0
	v_subrev_nc_u32_e32 v32, s17, v32
	s_delay_alu instid0(VALU_DEP_1) | instskip(SKIP_1) | instid1(VALU_DEP_1)
	v_dual_lshlrev_b32 v18, 2, v33 :: v_dual_lshlrev_b32 v32, 1, v32
	s_wait_xcnt 0x0
	v_or_b32_e32 v33, v18, v26
	v_or_b32_e32 v34, v18, v27
	s_clause 0x1
	global_load_b64 v[18:19], v33, s[8:9] scale_offset
	global_load_b64 v[20:21], v34, s[8:9] scale_offset
.LBB46_10:                              ;   in Loop: Header=BB46_8 Depth=2
	s_wait_xcnt 0x0
	s_or_b32 exec_lo, exec_lo, s18
	ds_store_b32 v25, v32
	s_wait_loadcnt 0x0
	ds_store_2addr_b64 v30, v[18:19], v[20:21] offset1:1
	s_wait_dscnt 0x0
	s_barrier_signal -1
	s_barrier_wait -1
	s_and_saveexec_b32 s1, vcc_lo
	s_cbranch_execz .LBB46_7
; %bb.11:                               ;   in Loop: Header=BB46_8 Depth=2
	v_mov_b32_e32 v18, v24
	s_mov_b32 s18, 0
.LBB46_12:                              ;   Parent Loop BB46_5 Depth=1
                                        ;     Parent Loop BB46_8 Depth=2
                                        ; =>    This Inner Loop Header: Depth=3
	s_delay_alu instid0(SALU_CYCLE_1) | instskip(SKIP_1) | instid1(SALU_CYCLE_1)
	v_add_nc_u32_e32 v19, s18, v23
	s_add_co_i32 s18, s18, 8
	s_cmp_lg_u32 s18, 64
	ds_load_b64 v[20:21], v19
	s_wait_dscnt 0x0
	v_dual_mov_b32 v32, v20 :: v_dual_ashrrev_i32 v33, 31, v20
	v_dual_add_nc_u32 v34, 1, v20 :: v_dual_mov_b32 v36, v21
	v_dual_add_nc_u32 v20, 1, v21 :: v_dual_ashrrev_i32 v37, 31, v21
	s_delay_alu instid0(VALU_DEP_3) | instskip(NEXT) | instid1(VALU_DEP_2)
	v_mul_u64_e32 v[32:33], s[2:3], v[32:33]
	v_dual_ashrrev_i32 v35, 31, v34 :: v_dual_ashrrev_i32 v21, 31, v20
	s_delay_alu instid0(VALU_DEP_3) | instskip(NEXT) | instid1(VALU_DEP_2)
	v_mul_u64_e32 v[36:37], s[2:3], v[36:37]
	v_mul_u64_e32 v[34:35], s[2:3], v[34:35]
	s_delay_alu instid0(VALU_DEP_3)
	v_mul_u64_e32 v[20:21], s[2:3], v[20:21]
	v_lshl_add_u64 v[32:33], v[32:33], 3, v[16:17]
	global_load_b64 v[40:41], v[32:33], off
	v_lshl_add_u64 v[20:21], v[20:21], 3, v[16:17]
	global_load_b64 v[20:21], v[20:21], off
	s_wait_xcnt 0x1
	v_lshl_add_u64 v[32:33], v[34:35], 3, v[16:17]
	global_load_b64 v[42:43], v[32:33], off
	s_wait_xcnt 0x0
	;; [unrolled: 3-line block ×3, first 2 shown]
	ds_load_b128 v[32:35], v18
	ds_load_2addr_b64 v[36:39], v18 offset0:3 offset1:4
	v_add_nc_u32_e32 v18, 48, v18
	s_wait_loadcnt_dscnt 0x301
	v_pk_fma_f32 v[14:15], v[32:33], v[40:41], v[14:15] op_sel_hi:[1,0,1]
	s_delay_alu instid0(VALU_DEP_1) | instskip(SKIP_3) | instid1(VALU_DEP_3)
	v_pk_fma_f32 v[14:15], v[32:33], v[40:41], v[14:15] op_sel:[1,1,0] op_sel_hi:[0,1,1] neg_lo:[1,0,0]
	v_xor_b32_e32 v32, 0x80000000, v35
	v_mov_b32_e32 v33, v34
	s_wait_loadcnt 0x1
	v_pk_fma_f32 v[14:15], v[34:35], v[42:43], v[14:15] op_sel_hi:[1,0,1]
	s_delay_alu instid0(VALU_DEP_1)
	v_pk_fma_f32 v[14:15], v[32:33], v[42:43], v[14:15] op_sel:[0,1,0]
	s_wait_dscnt 0x0
	v_xor_b32_e32 v32, 0x80000000, v39
	v_mov_b32_e32 v33, v38
	s_wait_loadcnt 0x0
	v_pk_fma_f32 v[14:15], v[36:37], v[44:45], v[14:15] op_sel_hi:[1,0,1]
	s_delay_alu instid0(VALU_DEP_1) | instskip(NEXT) | instid1(VALU_DEP_1)
	v_pk_fma_f32 v[14:15], v[36:37], v[44:45], v[14:15] op_sel:[1,1,0] op_sel_hi:[0,1,1] neg_lo:[1,0,0]
	v_pk_fma_f32 v[14:15], v[38:39], v[20:21], v[14:15] op_sel_hi:[1,0,1]
	s_delay_alu instid0(VALU_DEP_1)
	v_pk_fma_f32 v[14:15], v[32:33], v[20:21], v[14:15] op_sel:[0,1,0]
	s_cbranch_scc1 .LBB46_12
	s_branch .LBB46_7
.LBB46_13:                              ;   in Loop: Header=BB46_5 Depth=1
	s_or_b32 exec_lo, exec_lo, s16
.LBB46_14:                              ;   in Loop: Header=BB46_5 Depth=1
	s_delay_alu instid0(SALU_CYCLE_1) | instskip(NEXT) | instid1(SALU_CYCLE_1)
	s_or_b32 exec_lo, exec_lo, s13
	s_mov_b32 s1, exec_lo
	v_cmpx_gt_i32_e64 s22, v12
	s_cbranch_execz .LBB46_4
; %bb.15:                               ;   in Loop: Header=BB46_5 Depth=1
	s_and_saveexec_b32 s13, s4
	s_delay_alu instid0(SALU_CYCLE_1)
	s_xor_b32 s13, exec_lo, s13
	s_cbranch_execz .LBB46_20
; %bb.16:                               ;   in Loop: Header=BB46_5 Depth=1
	s_and_b32 vcc_lo, exec_lo, s12
	s_mov_b32 s16, -1
	s_cbranch_vccz .LBB46_18
; %bb.17:                               ;   in Loop: Header=BB46_5 Depth=1
	v_lshl_add_u64 v[16:17], v[12:13], 3, v[10:11]
	v_pk_mul_f32 v[20:21], v[14:15], v[0:1] op_sel:[1,0]
	s_mov_b32 s16, 0
	global_load_b64 v[18:19], v[16:17], off
	v_pk_fma_f32 v[20:21], v[2:3], v[14:15], v[20:21] op_sel_hi:[1,0,1]
	s_wait_loadcnt 0x0
	s_delay_alu instid0(VALU_DEP_1) | instskip(NEXT) | instid1(VALU_DEP_1)
	v_pk_fma_f32 v[20:21], v[4:5], v[18:19], v[20:21] op_sel_hi:[1,0,1]
	v_pk_fma_f32 v[18:19], v[6:7], v[18:19], v[20:21] op_sel:[0,1,0]
	global_store_b64 v[16:17], v[18:19], off
.LBB46_18:                              ;   in Loop: Header=BB46_5 Depth=1
	s_and_not1_b32 vcc_lo, exec_lo, s16
	s_cbranch_vccnz .LBB46_20
; %bb.19:                               ;   in Loop: Header=BB46_5 Depth=1
	v_mul_u64_e32 v[12:13], s[14:15], v[12:13]
	s_wait_xcnt 0x0
	v_pk_mul_f32 v[18:19], v[14:15], v[0:1] op_sel:[1,0]
	s_delay_alu instid0(VALU_DEP_1) | instskip(NEXT) | instid1(VALU_DEP_3)
	v_pk_fma_f32 v[14:15], v[2:3], v[14:15], v[18:19] op_sel_hi:[1,0,1]
	v_lshl_add_u64 v[12:13], v[12:13], 3, v[8:9]
	global_load_b64 v[16:17], v[12:13], off
	s_wait_loadcnt 0x0
	v_pk_fma_f32 v[14:15], v[4:5], v[16:17], v[14:15] op_sel_hi:[1,0,1]
	s_delay_alu instid0(VALU_DEP_1)
	v_pk_fma_f32 v[14:15], v[6:7], v[16:17], v[14:15] op_sel:[0,1,0]
	global_store_b64 v[12:13], v[14:15], off
                                        ; implicit-def: $vgpr14_vgpr15
                                        ; implicit-def: $vgpr12
.LBB46_20:                              ;   in Loop: Header=BB46_5 Depth=1
	s_wait_xcnt 0x0
	s_and_not1_saveexec_b32 s13, s13
	s_cbranch_execz .LBB46_4
; %bb.21:                               ;   in Loop: Header=BB46_5 Depth=1
	v_pk_mul_f32 v[16:17], v[14:15], v[0:1] op_sel:[1,0]
	s_and_b32 vcc_lo, exec_lo, s12
	s_mov_b32 s13, -1
	s_delay_alu instid0(VALU_DEP_1)
	v_pk_fma_f32 v[14:15], v[2:3], v[14:15], v[16:17] op_sel_hi:[1,0,1]
	s_cbranch_vccz .LBB46_23
; %bb.22:                               ;   in Loop: Header=BB46_5 Depth=1
	v_lshl_add_u64 v[16:17], v[12:13], 3, v[10:11]
	s_mov_b32 s13, 0
	global_store_b64 v[16:17], v[14:15], off
.LBB46_23:                              ;   in Loop: Header=BB46_5 Depth=1
	s_and_not1_b32 vcc_lo, exec_lo, s13
	s_cbranch_vccnz .LBB46_4
; %bb.24:                               ;   in Loop: Header=BB46_5 Depth=1
	v_mul_u64_e32 v[12:13], s[14:15], v[12:13]
	s_delay_alu instid0(VALU_DEP_1)
	v_lshl_add_u64 v[12:13], v[12:13], 3, v[8:9]
	global_store_b64 v[12:13], v[14:15], off
	s_branch .LBB46_4
.LBB46_25:
	s_endpgm
	.section	.rodata,"a",@progbits
	.p2align	6, 0x0
	.amdhsa_kernel _ZN9rocsparseL29bsrmmnt_small_blockdim_kernelILj64ELj16ELj2Eii21rocsparse_complex_numIfES2_S2_S2_EEv20rocsparse_direction_T3_S4_llNS_24const_host_device_scalarIT7_EEPKT2_PKS4_PKT4_PKT5_llS7_PT6_ll16rocsparse_order_21rocsparse_index_base_b
		.amdhsa_group_segment_fixed_size 1792
		.amdhsa_private_segment_fixed_size 0
		.amdhsa_kernarg_size 392
		.amdhsa_user_sgpr_count 2
		.amdhsa_user_sgpr_dispatch_ptr 0
		.amdhsa_user_sgpr_queue_ptr 0
		.amdhsa_user_sgpr_kernarg_segment_ptr 1
		.amdhsa_user_sgpr_dispatch_id 0
		.amdhsa_user_sgpr_kernarg_preload_length 0
		.amdhsa_user_sgpr_kernarg_preload_offset 0
		.amdhsa_user_sgpr_private_segment_size 0
		.amdhsa_wavefront_size32 1
		.amdhsa_uses_dynamic_stack 0
		.amdhsa_enable_private_segment 0
		.amdhsa_system_sgpr_workgroup_id_x 1
		.amdhsa_system_sgpr_workgroup_id_y 0
		.amdhsa_system_sgpr_workgroup_id_z 0
		.amdhsa_system_sgpr_workgroup_info 0
		.amdhsa_system_vgpr_workitem_id 0
		.amdhsa_next_free_vgpr 46
		.amdhsa_next_free_sgpr 23
		.amdhsa_named_barrier_count 0
		.amdhsa_reserve_vcc 1
		.amdhsa_float_round_mode_32 0
		.amdhsa_float_round_mode_16_64 0
		.amdhsa_float_denorm_mode_32 3
		.amdhsa_float_denorm_mode_16_64 3
		.amdhsa_fp16_overflow 0
		.amdhsa_memory_ordered 1
		.amdhsa_forward_progress 1
		.amdhsa_inst_pref_size 12
		.amdhsa_round_robin_scheduling 0
		.amdhsa_exception_fp_ieee_invalid_op 0
		.amdhsa_exception_fp_denorm_src 0
		.amdhsa_exception_fp_ieee_div_zero 0
		.amdhsa_exception_fp_ieee_overflow 0
		.amdhsa_exception_fp_ieee_underflow 0
		.amdhsa_exception_fp_ieee_inexact 0
		.amdhsa_exception_int_div_zero 0
	.end_amdhsa_kernel
	.section	.text._ZN9rocsparseL29bsrmmnt_small_blockdim_kernelILj64ELj16ELj2Eii21rocsparse_complex_numIfES2_S2_S2_EEv20rocsparse_direction_T3_S4_llNS_24const_host_device_scalarIT7_EEPKT2_PKS4_PKT4_PKT5_llS7_PT6_ll16rocsparse_order_21rocsparse_index_base_b,"axG",@progbits,_ZN9rocsparseL29bsrmmnt_small_blockdim_kernelILj64ELj16ELj2Eii21rocsparse_complex_numIfES2_S2_S2_EEv20rocsparse_direction_T3_S4_llNS_24const_host_device_scalarIT7_EEPKT2_PKS4_PKT4_PKT5_llS7_PT6_ll16rocsparse_order_21rocsparse_index_base_b,comdat
.Lfunc_end46:
	.size	_ZN9rocsparseL29bsrmmnt_small_blockdim_kernelILj64ELj16ELj2Eii21rocsparse_complex_numIfES2_S2_S2_EEv20rocsparse_direction_T3_S4_llNS_24const_host_device_scalarIT7_EEPKT2_PKS4_PKT4_PKT5_llS7_PT6_ll16rocsparse_order_21rocsparse_index_base_b, .Lfunc_end46-_ZN9rocsparseL29bsrmmnt_small_blockdim_kernelILj64ELj16ELj2Eii21rocsparse_complex_numIfES2_S2_S2_EEv20rocsparse_direction_T3_S4_llNS_24const_host_device_scalarIT7_EEPKT2_PKS4_PKT4_PKT5_llS7_PT6_ll16rocsparse_order_21rocsparse_index_base_b
                                        ; -- End function
	.set _ZN9rocsparseL29bsrmmnt_small_blockdim_kernelILj64ELj16ELj2Eii21rocsparse_complex_numIfES2_S2_S2_EEv20rocsparse_direction_T3_S4_llNS_24const_host_device_scalarIT7_EEPKT2_PKS4_PKT4_PKT5_llS7_PT6_ll16rocsparse_order_21rocsparse_index_base_b.num_vgpr, 46
	.set _ZN9rocsparseL29bsrmmnt_small_blockdim_kernelILj64ELj16ELj2Eii21rocsparse_complex_numIfES2_S2_S2_EEv20rocsparse_direction_T3_S4_llNS_24const_host_device_scalarIT7_EEPKT2_PKS4_PKT4_PKT5_llS7_PT6_ll16rocsparse_order_21rocsparse_index_base_b.num_agpr, 0
	.set _ZN9rocsparseL29bsrmmnt_small_blockdim_kernelILj64ELj16ELj2Eii21rocsparse_complex_numIfES2_S2_S2_EEv20rocsparse_direction_T3_S4_llNS_24const_host_device_scalarIT7_EEPKT2_PKS4_PKT4_PKT5_llS7_PT6_ll16rocsparse_order_21rocsparse_index_base_b.numbered_sgpr, 23
	.set _ZN9rocsparseL29bsrmmnt_small_blockdim_kernelILj64ELj16ELj2Eii21rocsparse_complex_numIfES2_S2_S2_EEv20rocsparse_direction_T3_S4_llNS_24const_host_device_scalarIT7_EEPKT2_PKS4_PKT4_PKT5_llS7_PT6_ll16rocsparse_order_21rocsparse_index_base_b.num_named_barrier, 0
	.set _ZN9rocsparseL29bsrmmnt_small_blockdim_kernelILj64ELj16ELj2Eii21rocsparse_complex_numIfES2_S2_S2_EEv20rocsparse_direction_T3_S4_llNS_24const_host_device_scalarIT7_EEPKT2_PKS4_PKT4_PKT5_llS7_PT6_ll16rocsparse_order_21rocsparse_index_base_b.private_seg_size, 0
	.set _ZN9rocsparseL29bsrmmnt_small_blockdim_kernelILj64ELj16ELj2Eii21rocsparse_complex_numIfES2_S2_S2_EEv20rocsparse_direction_T3_S4_llNS_24const_host_device_scalarIT7_EEPKT2_PKS4_PKT4_PKT5_llS7_PT6_ll16rocsparse_order_21rocsparse_index_base_b.uses_vcc, 1
	.set _ZN9rocsparseL29bsrmmnt_small_blockdim_kernelILj64ELj16ELj2Eii21rocsparse_complex_numIfES2_S2_S2_EEv20rocsparse_direction_T3_S4_llNS_24const_host_device_scalarIT7_EEPKT2_PKS4_PKT4_PKT5_llS7_PT6_ll16rocsparse_order_21rocsparse_index_base_b.uses_flat_scratch, 1
	.set _ZN9rocsparseL29bsrmmnt_small_blockdim_kernelILj64ELj16ELj2Eii21rocsparse_complex_numIfES2_S2_S2_EEv20rocsparse_direction_T3_S4_llNS_24const_host_device_scalarIT7_EEPKT2_PKS4_PKT4_PKT5_llS7_PT6_ll16rocsparse_order_21rocsparse_index_base_b.has_dyn_sized_stack, 0
	.set _ZN9rocsparseL29bsrmmnt_small_blockdim_kernelILj64ELj16ELj2Eii21rocsparse_complex_numIfES2_S2_S2_EEv20rocsparse_direction_T3_S4_llNS_24const_host_device_scalarIT7_EEPKT2_PKS4_PKT4_PKT5_llS7_PT6_ll16rocsparse_order_21rocsparse_index_base_b.has_recursion, 0
	.set _ZN9rocsparseL29bsrmmnt_small_blockdim_kernelILj64ELj16ELj2Eii21rocsparse_complex_numIfES2_S2_S2_EEv20rocsparse_direction_T3_S4_llNS_24const_host_device_scalarIT7_EEPKT2_PKS4_PKT4_PKT5_llS7_PT6_ll16rocsparse_order_21rocsparse_index_base_b.has_indirect_call, 0
	.section	.AMDGPU.csdata,"",@progbits
; Kernel info:
; codeLenInByte = 1516
; TotalNumSgprs: 25
; NumVgprs: 46
; ScratchSize: 0
; MemoryBound: 0
; FloatMode: 240
; IeeeMode: 1
; LDSByteSize: 1792 bytes/workgroup (compile time only)
; SGPRBlocks: 0
; VGPRBlocks: 2
; NumSGPRsForWavesPerEU: 25
; NumVGPRsForWavesPerEU: 46
; NamedBarCnt: 0
; Occupancy: 16
; WaveLimiterHint : 0
; COMPUTE_PGM_RSRC2:SCRATCH_EN: 0
; COMPUTE_PGM_RSRC2:USER_SGPR: 2
; COMPUTE_PGM_RSRC2:TRAP_HANDLER: 0
; COMPUTE_PGM_RSRC2:TGID_X_EN: 1
; COMPUTE_PGM_RSRC2:TGID_Y_EN: 0
; COMPUTE_PGM_RSRC2:TGID_Z_EN: 0
; COMPUTE_PGM_RSRC2:TIDIG_COMP_CNT: 0
	.section	.text._ZN9rocsparseL29bsrmmnt_small_blockdim_kernelILj64ELj32ELj2Eii21rocsparse_complex_numIfES2_S2_S2_EEv20rocsparse_direction_T3_S4_llNS_24const_host_device_scalarIT7_EEPKT2_PKS4_PKT4_PKT5_llS7_PT6_ll16rocsparse_order_21rocsparse_index_base_b,"axG",@progbits,_ZN9rocsparseL29bsrmmnt_small_blockdim_kernelILj64ELj32ELj2Eii21rocsparse_complex_numIfES2_S2_S2_EEv20rocsparse_direction_T3_S4_llNS_24const_host_device_scalarIT7_EEPKT2_PKS4_PKT4_PKT5_llS7_PT6_ll16rocsparse_order_21rocsparse_index_base_b,comdat
	.globl	_ZN9rocsparseL29bsrmmnt_small_blockdim_kernelILj64ELj32ELj2Eii21rocsparse_complex_numIfES2_S2_S2_EEv20rocsparse_direction_T3_S4_llNS_24const_host_device_scalarIT7_EEPKT2_PKS4_PKT4_PKT5_llS7_PT6_ll16rocsparse_order_21rocsparse_index_base_b ; -- Begin function _ZN9rocsparseL29bsrmmnt_small_blockdim_kernelILj64ELj32ELj2Eii21rocsparse_complex_numIfES2_S2_S2_EEv20rocsparse_direction_T3_S4_llNS_24const_host_device_scalarIT7_EEPKT2_PKS4_PKT4_PKT5_llS7_PT6_ll16rocsparse_order_21rocsparse_index_base_b
	.p2align	8
	.type	_ZN9rocsparseL29bsrmmnt_small_blockdim_kernelILj64ELj32ELj2Eii21rocsparse_complex_numIfES2_S2_S2_EEv20rocsparse_direction_T3_S4_llNS_24const_host_device_scalarIT7_EEPKT2_PKS4_PKT4_PKT5_llS7_PT6_ll16rocsparse_order_21rocsparse_index_base_b,@function
_ZN9rocsparseL29bsrmmnt_small_blockdim_kernelILj64ELj32ELj2Eii21rocsparse_complex_numIfES2_S2_S2_EEv20rocsparse_direction_T3_S4_llNS_24const_host_device_scalarIT7_EEPKT2_PKS4_PKT4_PKT5_llS7_PT6_ll16rocsparse_order_21rocsparse_index_base_b: ; @_ZN9rocsparseL29bsrmmnt_small_blockdim_kernelILj64ELj32ELj2Eii21rocsparse_complex_numIfES2_S2_S2_EEv20rocsparse_direction_T3_S4_llNS_24const_host_device_scalarIT7_EEPKT2_PKS4_PKT4_PKT5_llS7_PT6_ll16rocsparse_order_21rocsparse_index_base_b
; %bb.0:
	s_clause 0x2
	s_load_b96 s[16:18], s[0:1], 0x78
	s_load_b64 s[2:3], s[0:1], 0x20
	s_load_b64 s[4:5], s[0:1], 0x58
	v_mov_b32_e32 v1, 0
	s_add_nc_u64 s[6:7], s[0:1], 32
	s_add_nc_u64 s[8:9], s[0:1], 0x58
	s_wait_kmcnt 0x0
	s_bitcmp1_b32 s18, 0
	s_cselect_b32 s3, s7, s3
	s_cselect_b32 s2, s6, s2
	;; [unrolled: 1-line block ×4, first 2 shown]
	s_clause 0x1
	flat_load_b64 v[2:3], v1, s[2:3]
	flat_load_b64 v[4:5], v1, s[4:5]
	s_wait_loadcnt_dscnt 0x101
	s_wait_xcnt 0x1
	v_cmp_eq_f32_e64 s2, 0, v2
	v_cmp_eq_f32_e64 s3, 0, v3
	s_wait_loadcnt_dscnt 0x0
	v_cmp_eq_f32_e64 s4, 1.0, v4
	v_cmp_eq_f32_e32 vcc_lo, 0, v5
	s_and_b32 s2, s2, s3
	s_and_b32 s3, s4, vcc_lo
	s_delay_alu instid0(SALU_CYCLE_1) | instskip(NEXT) | instid1(SALU_CYCLE_1)
	s_and_b32 s2, s2, s3
	s_xor_b32 s2, s2, -1
	s_delay_alu instid0(SALU_CYCLE_1)
	s_and_saveexec_b32 s3, s2
	s_cbranch_execz .LBB47_25
; %bb.1:
	s_clause 0x1
	s_load_b32 s2, s[0:1], 0x94
	s_load_b96 s[20:22], s[0:1], 0x0
	s_bfe_u32 s3, ttmp6, 0x4000c
	s_and_b32 s4, ttmp6, 15
	s_add_co_i32 s3, s3, 1
	s_getreg_b32 s5, hwreg(HW_REG_IB_STS2, 6, 4)
	s_mul_i32 s3, ttmp9, s3
	s_delay_alu instid0(SALU_CYCLE_1) | instskip(SKIP_4) | instid1(SALU_CYCLE_1)
	s_add_co_i32 s4, s4, s3
	s_wait_kmcnt 0x0
	s_and_b32 s2, s2, 0xffff
	s_cmp_eq_u32 s5, 0
	s_cselect_b32 s3, ttmp9, s4
	v_mad_u32 v1, s3, s2, v0
	s_delay_alu instid0(VALU_DEP_1) | instskip(NEXT) | instid1(VALU_DEP_1)
	v_lshrrev_b32_e32 v6, 6, v1
	v_cmp_gt_i32_e64 s2, s21, v6
	s_and_b32 exec_lo, exec_lo, s2
	s_cbranch_execz .LBB47_25
; %bb.2:
	s_cmp_lt_i32 s22, 1
	s_cbranch_scc1 .LBB47_25
; %bb.3:
	s_load_b256 s[4:11], s[0:1], 0x28
	v_dual_lshlrev_b32 v6, 2, v6 :: v_dual_lshrrev_b32 v8, 5, v1
	s_clause 0x1
	s_load_b128 s[12:15], s[0:1], 0x60
	s_load_b64 s[2:3], s[0:1], 0x48
	v_dual_mov_b32 v9, 0 :: v_dual_bitop2_b32 v22, 31, v0 bitop3:0x40
	v_bfe_u32 v14, v1, 5, 1
	v_dual_lshrrev_b32 v15, 5, v0 :: v_dual_mov_b32 v1, v2
	s_cmp_eq_u32 s20, 0
	s_wait_xcnt 0x0
	v_cmp_neq_f32_e64 s0, 0, v4
	v_dual_lshlrev_b32 v17, 1, v14 :: v_dual_mov_b32 v7, v4
	v_or_b32_e32 v16, 2, v14
	v_lshl_or_b32 v23, v15, 7, 0x600
	s_cselect_b32 s1, -1, 0
	v_mul_u32_u24_e32 v24, 0x300, v15
	v_mul_u32_u24_e32 v15, 24, v22
	v_xor_b32_e32 v0, 0x80000000, v3
	s_wait_kmcnt 0x0
	global_load_b64 v[12:13], v6, s[4:5]
	s_wait_xcnt 0x0
	s_xor_b32 s4, vcc_lo, -1
	v_xor_b32_e32 v6, 0x80000000, v5
	v_mul_u64_e32 v[10:11], s[14:15], v[8:9]
	v_dual_lshlrev_b32 v8, 3, v8 :: v_dual_bitop2_b32 v18, 1, v17 bitop3:0x54
	v_cndmask_b32_e64 v26, v14, v17, s1
	s_or_b32 s4, s0, s4
	v_lshl_or_b32 v25, v22, 2, v23
	s_delay_alu instid0(VALU_DEP_3)
	v_add_nc_u64_e32 v[8:9], s[12:13], v[8:9]
	v_cndmask_b32_e64 v27, v16, v18, s1
	v_add_nc_u32_e32 v30, v24, v15
	s_cmp_lg_u32 s16, 1
	s_mov_b32 s5, 0
	v_lshl_add_u64 v[10:11], v[10:11], 3, s[12:13]
	s_cselect_b32 s12, -1, 0
	s_wait_loadcnt 0x0
	v_subrev_nc_u32_e32 v28, s17, v12
	v_subrev_nc_u32_e32 v29, s17, v13
	v_cmp_lt_i32_e64 s0, v12, v13
	s_branch .LBB47_5
.LBB47_4:                               ;   in Loop: Header=BB47_5 Depth=1
	s_wait_xcnt 0x0
	s_or_b32 exec_lo, exec_lo, s1
	s_add_co_i32 s5, s5, 32
	s_delay_alu instid0(SALU_CYCLE_1)
	s_cmp_lt_i32 s5, s22
	s_cbranch_scc0 .LBB47_25
.LBB47_5:                               ; =>This Loop Header: Depth=1
                                        ;     Child Loop BB47_8 Depth 2
                                        ;       Child Loop BB47_12 Depth 3
	v_or_b32_e32 v12, s5, v22
	v_mov_b64_e32 v[14:15], 0
	s_delay_alu instid0(VALU_DEP_2)
	v_ashrrev_i32_e32 v13, 31, v12
	s_and_saveexec_b32 s13, s0
	s_cbranch_execz .LBB47_14
; %bb.6:                                ;   in Loop: Header=BB47_5 Depth=1
	v_mov_b64_e32 v[14:15], 0
	s_delay_alu instid0(VALU_DEP_2)
	v_lshl_add_u64 v[16:17], v[12:13], 3, s[10:11]
	v_mov_b32_e32 v31, v28
	s_mov_b32 s16, 0
	v_cmp_gt_i32_e32 vcc_lo, s22, v12
	s_branch .LBB47_8
.LBB47_7:                               ;   in Loop: Header=BB47_8 Depth=2
	s_or_b32 exec_lo, exec_lo, s1
	v_add_nc_u32_e32 v31, 32, v31
	s_delay_alu instid0(VALU_DEP_1) | instskip(SKIP_1) | instid1(SALU_CYCLE_1)
	v_cmp_ge_i32_e64 s1, v31, v29
	s_or_b32 s16, s1, s16
	s_and_not1_b32 exec_lo, exec_lo, s16
	s_cbranch_execz .LBB47_13
.LBB47_8:                               ;   Parent Loop BB47_5 Depth=1
                                        ; =>  This Loop Header: Depth=2
                                        ;       Child Loop BB47_12 Depth 3
	s_delay_alu instid0(VALU_DEP_2) | instskip(SKIP_3) | instid1(VALU_DEP_3)
	v_dual_mov_b32 v32, 0 :: v_dual_add_nc_u32 v33, v31, v22
	v_dual_mov_b32 v18, 0 :: v_dual_mov_b32 v19, 0
	v_dual_mov_b32 v20, 0 :: v_dual_mov_b32 v21, 0
	s_mov_b32 s18, exec_lo
	v_cmpx_lt_i32_e64 v33, v29
	s_cbranch_execz .LBB47_10
; %bb.9:                                ;   in Loop: Header=BB47_8 Depth=2
	global_load_b32 v32, v33, s[6:7] scale_offset
	s_wait_loadcnt 0x0
	v_subrev_nc_u32_e32 v32, s17, v32
	s_delay_alu instid0(VALU_DEP_1) | instskip(SKIP_1) | instid1(VALU_DEP_1)
	v_dual_lshlrev_b32 v18, 2, v33 :: v_dual_lshlrev_b32 v32, 1, v32
	s_wait_xcnt 0x0
	v_or_b32_e32 v33, v18, v26
	v_or_b32_e32 v34, v18, v27
	s_clause 0x1
	global_load_b64 v[18:19], v33, s[8:9] scale_offset
	global_load_b64 v[20:21], v34, s[8:9] scale_offset
.LBB47_10:                              ;   in Loop: Header=BB47_8 Depth=2
	s_wait_xcnt 0x0
	s_or_b32 exec_lo, exec_lo, s18
	ds_store_b32 v25, v32
	s_wait_loadcnt 0x0
	ds_store_2addr_b64 v30, v[18:19], v[20:21] offset1:1
	s_wait_dscnt 0x0
	s_barrier_signal -1
	s_barrier_wait -1
	s_and_saveexec_b32 s1, vcc_lo
	s_cbranch_execz .LBB47_7
; %bb.11:                               ;   in Loop: Header=BB47_8 Depth=2
	v_mov_b32_e32 v18, v24
	s_mov_b32 s18, 0
.LBB47_12:                              ;   Parent Loop BB47_5 Depth=1
                                        ;     Parent Loop BB47_8 Depth=2
                                        ; =>    This Inner Loop Header: Depth=3
	s_delay_alu instid0(SALU_CYCLE_1) | instskip(SKIP_1) | instid1(SALU_CYCLE_1)
	v_add_nc_u32_e32 v19, s18, v23
	s_add_co_i32 s18, s18, 8
	s_cmp_lg_u32 s18, 0x80
	ds_load_b64 v[20:21], v19
	s_wait_dscnt 0x0
	v_dual_mov_b32 v32, v20 :: v_dual_ashrrev_i32 v33, 31, v20
	v_dual_add_nc_u32 v34, 1, v20 :: v_dual_mov_b32 v36, v21
	v_dual_add_nc_u32 v20, 1, v21 :: v_dual_ashrrev_i32 v37, 31, v21
	s_delay_alu instid0(VALU_DEP_3) | instskip(NEXT) | instid1(VALU_DEP_2)
	v_mul_u64_e32 v[32:33], s[2:3], v[32:33]
	v_dual_ashrrev_i32 v35, 31, v34 :: v_dual_ashrrev_i32 v21, 31, v20
	s_delay_alu instid0(VALU_DEP_3) | instskip(NEXT) | instid1(VALU_DEP_2)
	v_mul_u64_e32 v[36:37], s[2:3], v[36:37]
	v_mul_u64_e32 v[34:35], s[2:3], v[34:35]
	s_delay_alu instid0(VALU_DEP_3)
	v_mul_u64_e32 v[20:21], s[2:3], v[20:21]
	v_lshl_add_u64 v[32:33], v[32:33], 3, v[16:17]
	global_load_b64 v[40:41], v[32:33], off
	v_lshl_add_u64 v[20:21], v[20:21], 3, v[16:17]
	global_load_b64 v[20:21], v[20:21], off
	s_wait_xcnt 0x1
	v_lshl_add_u64 v[32:33], v[34:35], 3, v[16:17]
	global_load_b64 v[42:43], v[32:33], off
	s_wait_xcnt 0x0
	;; [unrolled: 3-line block ×3, first 2 shown]
	ds_load_b128 v[32:35], v18
	ds_load_2addr_b64 v[36:39], v18 offset0:3 offset1:4
	v_add_nc_u32_e32 v18, 48, v18
	s_wait_loadcnt_dscnt 0x301
	v_pk_fma_f32 v[14:15], v[32:33], v[40:41], v[14:15] op_sel_hi:[1,0,1]
	s_delay_alu instid0(VALU_DEP_1) | instskip(SKIP_3) | instid1(VALU_DEP_3)
	v_pk_fma_f32 v[14:15], v[32:33], v[40:41], v[14:15] op_sel:[1,1,0] op_sel_hi:[0,1,1] neg_lo:[1,0,0]
	v_xor_b32_e32 v32, 0x80000000, v35
	v_mov_b32_e32 v33, v34
	s_wait_loadcnt 0x1
	v_pk_fma_f32 v[14:15], v[34:35], v[42:43], v[14:15] op_sel_hi:[1,0,1]
	s_delay_alu instid0(VALU_DEP_1)
	v_pk_fma_f32 v[14:15], v[32:33], v[42:43], v[14:15] op_sel:[0,1,0]
	s_wait_dscnt 0x0
	v_xor_b32_e32 v32, 0x80000000, v39
	v_mov_b32_e32 v33, v38
	s_wait_loadcnt 0x0
	v_pk_fma_f32 v[14:15], v[36:37], v[44:45], v[14:15] op_sel_hi:[1,0,1]
	s_delay_alu instid0(VALU_DEP_1) | instskip(NEXT) | instid1(VALU_DEP_1)
	v_pk_fma_f32 v[14:15], v[36:37], v[44:45], v[14:15] op_sel:[1,1,0] op_sel_hi:[0,1,1] neg_lo:[1,0,0]
	v_pk_fma_f32 v[14:15], v[38:39], v[20:21], v[14:15] op_sel_hi:[1,0,1]
	s_delay_alu instid0(VALU_DEP_1)
	v_pk_fma_f32 v[14:15], v[32:33], v[20:21], v[14:15] op_sel:[0,1,0]
	s_cbranch_scc1 .LBB47_12
	s_branch .LBB47_7
.LBB47_13:                              ;   in Loop: Header=BB47_5 Depth=1
	s_or_b32 exec_lo, exec_lo, s16
.LBB47_14:                              ;   in Loop: Header=BB47_5 Depth=1
	s_delay_alu instid0(SALU_CYCLE_1) | instskip(NEXT) | instid1(SALU_CYCLE_1)
	s_or_b32 exec_lo, exec_lo, s13
	s_mov_b32 s1, exec_lo
	v_cmpx_gt_i32_e64 s22, v12
	s_cbranch_execz .LBB47_4
; %bb.15:                               ;   in Loop: Header=BB47_5 Depth=1
	s_and_saveexec_b32 s13, s4
	s_delay_alu instid0(SALU_CYCLE_1)
	s_xor_b32 s13, exec_lo, s13
	s_cbranch_execz .LBB47_20
; %bb.16:                               ;   in Loop: Header=BB47_5 Depth=1
	s_and_b32 vcc_lo, exec_lo, s12
	s_mov_b32 s16, -1
	s_cbranch_vccz .LBB47_18
; %bb.17:                               ;   in Loop: Header=BB47_5 Depth=1
	v_lshl_add_u64 v[16:17], v[12:13], 3, v[10:11]
	v_pk_mul_f32 v[20:21], v[14:15], v[0:1] op_sel:[1,0]
	s_mov_b32 s16, 0
	global_load_b64 v[18:19], v[16:17], off
	v_pk_fma_f32 v[20:21], v[2:3], v[14:15], v[20:21] op_sel_hi:[1,0,1]
	s_wait_loadcnt 0x0
	s_delay_alu instid0(VALU_DEP_1) | instskip(NEXT) | instid1(VALU_DEP_1)
	v_pk_fma_f32 v[20:21], v[4:5], v[18:19], v[20:21] op_sel_hi:[1,0,1]
	v_pk_fma_f32 v[18:19], v[6:7], v[18:19], v[20:21] op_sel:[0,1,0]
	global_store_b64 v[16:17], v[18:19], off
.LBB47_18:                              ;   in Loop: Header=BB47_5 Depth=1
	s_and_not1_b32 vcc_lo, exec_lo, s16
	s_cbranch_vccnz .LBB47_20
; %bb.19:                               ;   in Loop: Header=BB47_5 Depth=1
	v_mul_u64_e32 v[12:13], s[14:15], v[12:13]
	s_wait_xcnt 0x0
	v_pk_mul_f32 v[18:19], v[14:15], v[0:1] op_sel:[1,0]
	s_delay_alu instid0(VALU_DEP_1) | instskip(NEXT) | instid1(VALU_DEP_3)
	v_pk_fma_f32 v[14:15], v[2:3], v[14:15], v[18:19] op_sel_hi:[1,0,1]
	v_lshl_add_u64 v[12:13], v[12:13], 3, v[8:9]
	global_load_b64 v[16:17], v[12:13], off
	s_wait_loadcnt 0x0
	v_pk_fma_f32 v[14:15], v[4:5], v[16:17], v[14:15] op_sel_hi:[1,0,1]
	s_delay_alu instid0(VALU_DEP_1)
	v_pk_fma_f32 v[14:15], v[6:7], v[16:17], v[14:15] op_sel:[0,1,0]
	global_store_b64 v[12:13], v[14:15], off
                                        ; implicit-def: $vgpr14_vgpr15
                                        ; implicit-def: $vgpr12
.LBB47_20:                              ;   in Loop: Header=BB47_5 Depth=1
	s_wait_xcnt 0x0
	s_and_not1_saveexec_b32 s13, s13
	s_cbranch_execz .LBB47_4
; %bb.21:                               ;   in Loop: Header=BB47_5 Depth=1
	v_pk_mul_f32 v[16:17], v[14:15], v[0:1] op_sel:[1,0]
	s_and_b32 vcc_lo, exec_lo, s12
	s_mov_b32 s13, -1
	s_delay_alu instid0(VALU_DEP_1)
	v_pk_fma_f32 v[14:15], v[2:3], v[14:15], v[16:17] op_sel_hi:[1,0,1]
	s_cbranch_vccz .LBB47_23
; %bb.22:                               ;   in Loop: Header=BB47_5 Depth=1
	v_lshl_add_u64 v[16:17], v[12:13], 3, v[10:11]
	s_mov_b32 s13, 0
	global_store_b64 v[16:17], v[14:15], off
.LBB47_23:                              ;   in Loop: Header=BB47_5 Depth=1
	s_and_not1_b32 vcc_lo, exec_lo, s13
	s_cbranch_vccnz .LBB47_4
; %bb.24:                               ;   in Loop: Header=BB47_5 Depth=1
	v_mul_u64_e32 v[12:13], s[14:15], v[12:13]
	s_delay_alu instid0(VALU_DEP_1)
	v_lshl_add_u64 v[12:13], v[12:13], 3, v[8:9]
	global_store_b64 v[12:13], v[14:15], off
	s_branch .LBB47_4
.LBB47_25:
	s_endpgm
	.section	.rodata,"a",@progbits
	.p2align	6, 0x0
	.amdhsa_kernel _ZN9rocsparseL29bsrmmnt_small_blockdim_kernelILj64ELj32ELj2Eii21rocsparse_complex_numIfES2_S2_S2_EEv20rocsparse_direction_T3_S4_llNS_24const_host_device_scalarIT7_EEPKT2_PKS4_PKT4_PKT5_llS7_PT6_ll16rocsparse_order_21rocsparse_index_base_b
		.amdhsa_group_segment_fixed_size 1792
		.amdhsa_private_segment_fixed_size 0
		.amdhsa_kernarg_size 392
		.amdhsa_user_sgpr_count 2
		.amdhsa_user_sgpr_dispatch_ptr 0
		.amdhsa_user_sgpr_queue_ptr 0
		.amdhsa_user_sgpr_kernarg_segment_ptr 1
		.amdhsa_user_sgpr_dispatch_id 0
		.amdhsa_user_sgpr_kernarg_preload_length 0
		.amdhsa_user_sgpr_kernarg_preload_offset 0
		.amdhsa_user_sgpr_private_segment_size 0
		.amdhsa_wavefront_size32 1
		.amdhsa_uses_dynamic_stack 0
		.amdhsa_enable_private_segment 0
		.amdhsa_system_sgpr_workgroup_id_x 1
		.amdhsa_system_sgpr_workgroup_id_y 0
		.amdhsa_system_sgpr_workgroup_id_z 0
		.amdhsa_system_sgpr_workgroup_info 0
		.amdhsa_system_vgpr_workitem_id 0
		.amdhsa_next_free_vgpr 46
		.amdhsa_next_free_sgpr 23
		.amdhsa_named_barrier_count 0
		.amdhsa_reserve_vcc 1
		.amdhsa_float_round_mode_32 0
		.amdhsa_float_round_mode_16_64 0
		.amdhsa_float_denorm_mode_32 3
		.amdhsa_float_denorm_mode_16_64 3
		.amdhsa_fp16_overflow 0
		.amdhsa_memory_ordered 1
		.amdhsa_forward_progress 1
		.amdhsa_inst_pref_size 12
		.amdhsa_round_robin_scheduling 0
		.amdhsa_exception_fp_ieee_invalid_op 0
		.amdhsa_exception_fp_denorm_src 0
		.amdhsa_exception_fp_ieee_div_zero 0
		.amdhsa_exception_fp_ieee_overflow 0
		.amdhsa_exception_fp_ieee_underflow 0
		.amdhsa_exception_fp_ieee_inexact 0
		.amdhsa_exception_int_div_zero 0
	.end_amdhsa_kernel
	.section	.text._ZN9rocsparseL29bsrmmnt_small_blockdim_kernelILj64ELj32ELj2Eii21rocsparse_complex_numIfES2_S2_S2_EEv20rocsparse_direction_T3_S4_llNS_24const_host_device_scalarIT7_EEPKT2_PKS4_PKT4_PKT5_llS7_PT6_ll16rocsparse_order_21rocsparse_index_base_b,"axG",@progbits,_ZN9rocsparseL29bsrmmnt_small_blockdim_kernelILj64ELj32ELj2Eii21rocsparse_complex_numIfES2_S2_S2_EEv20rocsparse_direction_T3_S4_llNS_24const_host_device_scalarIT7_EEPKT2_PKS4_PKT4_PKT5_llS7_PT6_ll16rocsparse_order_21rocsparse_index_base_b,comdat
.Lfunc_end47:
	.size	_ZN9rocsparseL29bsrmmnt_small_blockdim_kernelILj64ELj32ELj2Eii21rocsparse_complex_numIfES2_S2_S2_EEv20rocsparse_direction_T3_S4_llNS_24const_host_device_scalarIT7_EEPKT2_PKS4_PKT4_PKT5_llS7_PT6_ll16rocsparse_order_21rocsparse_index_base_b, .Lfunc_end47-_ZN9rocsparseL29bsrmmnt_small_blockdim_kernelILj64ELj32ELj2Eii21rocsparse_complex_numIfES2_S2_S2_EEv20rocsparse_direction_T3_S4_llNS_24const_host_device_scalarIT7_EEPKT2_PKS4_PKT4_PKT5_llS7_PT6_ll16rocsparse_order_21rocsparse_index_base_b
                                        ; -- End function
	.set _ZN9rocsparseL29bsrmmnt_small_blockdim_kernelILj64ELj32ELj2Eii21rocsparse_complex_numIfES2_S2_S2_EEv20rocsparse_direction_T3_S4_llNS_24const_host_device_scalarIT7_EEPKT2_PKS4_PKT4_PKT5_llS7_PT6_ll16rocsparse_order_21rocsparse_index_base_b.num_vgpr, 46
	.set _ZN9rocsparseL29bsrmmnt_small_blockdim_kernelILj64ELj32ELj2Eii21rocsparse_complex_numIfES2_S2_S2_EEv20rocsparse_direction_T3_S4_llNS_24const_host_device_scalarIT7_EEPKT2_PKS4_PKT4_PKT5_llS7_PT6_ll16rocsparse_order_21rocsparse_index_base_b.num_agpr, 0
	.set _ZN9rocsparseL29bsrmmnt_small_blockdim_kernelILj64ELj32ELj2Eii21rocsparse_complex_numIfES2_S2_S2_EEv20rocsparse_direction_T3_S4_llNS_24const_host_device_scalarIT7_EEPKT2_PKS4_PKT4_PKT5_llS7_PT6_ll16rocsparse_order_21rocsparse_index_base_b.numbered_sgpr, 23
	.set _ZN9rocsparseL29bsrmmnt_small_blockdim_kernelILj64ELj32ELj2Eii21rocsparse_complex_numIfES2_S2_S2_EEv20rocsparse_direction_T3_S4_llNS_24const_host_device_scalarIT7_EEPKT2_PKS4_PKT4_PKT5_llS7_PT6_ll16rocsparse_order_21rocsparse_index_base_b.num_named_barrier, 0
	.set _ZN9rocsparseL29bsrmmnt_small_blockdim_kernelILj64ELj32ELj2Eii21rocsparse_complex_numIfES2_S2_S2_EEv20rocsparse_direction_T3_S4_llNS_24const_host_device_scalarIT7_EEPKT2_PKS4_PKT4_PKT5_llS7_PT6_ll16rocsparse_order_21rocsparse_index_base_b.private_seg_size, 0
	.set _ZN9rocsparseL29bsrmmnt_small_blockdim_kernelILj64ELj32ELj2Eii21rocsparse_complex_numIfES2_S2_S2_EEv20rocsparse_direction_T3_S4_llNS_24const_host_device_scalarIT7_EEPKT2_PKS4_PKT4_PKT5_llS7_PT6_ll16rocsparse_order_21rocsparse_index_base_b.uses_vcc, 1
	.set _ZN9rocsparseL29bsrmmnt_small_blockdim_kernelILj64ELj32ELj2Eii21rocsparse_complex_numIfES2_S2_S2_EEv20rocsparse_direction_T3_S4_llNS_24const_host_device_scalarIT7_EEPKT2_PKS4_PKT4_PKT5_llS7_PT6_ll16rocsparse_order_21rocsparse_index_base_b.uses_flat_scratch, 1
	.set _ZN9rocsparseL29bsrmmnt_small_blockdim_kernelILj64ELj32ELj2Eii21rocsparse_complex_numIfES2_S2_S2_EEv20rocsparse_direction_T3_S4_llNS_24const_host_device_scalarIT7_EEPKT2_PKS4_PKT4_PKT5_llS7_PT6_ll16rocsparse_order_21rocsparse_index_base_b.has_dyn_sized_stack, 0
	.set _ZN9rocsparseL29bsrmmnt_small_blockdim_kernelILj64ELj32ELj2Eii21rocsparse_complex_numIfES2_S2_S2_EEv20rocsparse_direction_T3_S4_llNS_24const_host_device_scalarIT7_EEPKT2_PKS4_PKT4_PKT5_llS7_PT6_ll16rocsparse_order_21rocsparse_index_base_b.has_recursion, 0
	.set _ZN9rocsparseL29bsrmmnt_small_blockdim_kernelILj64ELj32ELj2Eii21rocsparse_complex_numIfES2_S2_S2_EEv20rocsparse_direction_T3_S4_llNS_24const_host_device_scalarIT7_EEPKT2_PKS4_PKT4_PKT5_llS7_PT6_ll16rocsparse_order_21rocsparse_index_base_b.has_indirect_call, 0
	.section	.AMDGPU.csdata,"",@progbits
; Kernel info:
; codeLenInByte = 1520
; TotalNumSgprs: 25
; NumVgprs: 46
; ScratchSize: 0
; MemoryBound: 0
; FloatMode: 240
; IeeeMode: 1
; LDSByteSize: 1792 bytes/workgroup (compile time only)
; SGPRBlocks: 0
; VGPRBlocks: 2
; NumSGPRsForWavesPerEU: 25
; NumVGPRsForWavesPerEU: 46
; NamedBarCnt: 0
; Occupancy: 16
; WaveLimiterHint : 0
; COMPUTE_PGM_RSRC2:SCRATCH_EN: 0
; COMPUTE_PGM_RSRC2:USER_SGPR: 2
; COMPUTE_PGM_RSRC2:TRAP_HANDLER: 0
; COMPUTE_PGM_RSRC2:TGID_X_EN: 1
; COMPUTE_PGM_RSRC2:TGID_Y_EN: 0
; COMPUTE_PGM_RSRC2:TGID_Z_EN: 0
; COMPUTE_PGM_RSRC2:TIDIG_COMP_CNT: 0
	.section	.text._ZN9rocsparseL29bsrmmnt_small_blockdim_kernelILj64ELj64ELj2Eii21rocsparse_complex_numIfES2_S2_S2_EEv20rocsparse_direction_T3_S4_llNS_24const_host_device_scalarIT7_EEPKT2_PKS4_PKT4_PKT5_llS7_PT6_ll16rocsparse_order_21rocsparse_index_base_b,"axG",@progbits,_ZN9rocsparseL29bsrmmnt_small_blockdim_kernelILj64ELj64ELj2Eii21rocsparse_complex_numIfES2_S2_S2_EEv20rocsparse_direction_T3_S4_llNS_24const_host_device_scalarIT7_EEPKT2_PKS4_PKT4_PKT5_llS7_PT6_ll16rocsparse_order_21rocsparse_index_base_b,comdat
	.globl	_ZN9rocsparseL29bsrmmnt_small_blockdim_kernelILj64ELj64ELj2Eii21rocsparse_complex_numIfES2_S2_S2_EEv20rocsparse_direction_T3_S4_llNS_24const_host_device_scalarIT7_EEPKT2_PKS4_PKT4_PKT5_llS7_PT6_ll16rocsparse_order_21rocsparse_index_base_b ; -- Begin function _ZN9rocsparseL29bsrmmnt_small_blockdim_kernelILj64ELj64ELj2Eii21rocsparse_complex_numIfES2_S2_S2_EEv20rocsparse_direction_T3_S4_llNS_24const_host_device_scalarIT7_EEPKT2_PKS4_PKT4_PKT5_llS7_PT6_ll16rocsparse_order_21rocsparse_index_base_b
	.p2align	8
	.type	_ZN9rocsparseL29bsrmmnt_small_blockdim_kernelILj64ELj64ELj2Eii21rocsparse_complex_numIfES2_S2_S2_EEv20rocsparse_direction_T3_S4_llNS_24const_host_device_scalarIT7_EEPKT2_PKS4_PKT4_PKT5_llS7_PT6_ll16rocsparse_order_21rocsparse_index_base_b,@function
_ZN9rocsparseL29bsrmmnt_small_blockdim_kernelILj64ELj64ELj2Eii21rocsparse_complex_numIfES2_S2_S2_EEv20rocsparse_direction_T3_S4_llNS_24const_host_device_scalarIT7_EEPKT2_PKS4_PKT4_PKT5_llS7_PT6_ll16rocsparse_order_21rocsparse_index_base_b: ; @_ZN9rocsparseL29bsrmmnt_small_blockdim_kernelILj64ELj64ELj2Eii21rocsparse_complex_numIfES2_S2_S2_EEv20rocsparse_direction_T3_S4_llNS_24const_host_device_scalarIT7_EEPKT2_PKS4_PKT4_PKT5_llS7_PT6_ll16rocsparse_order_21rocsparse_index_base_b
; %bb.0:
	s_clause 0x2
	s_load_b96 s[16:18], s[0:1], 0x78
	s_load_b64 s[2:3], s[0:1], 0x20
	s_load_b64 s[4:5], s[0:1], 0x58
	v_mov_b32_e32 v1, 0
	s_add_nc_u64 s[6:7], s[0:1], 32
	s_add_nc_u64 s[8:9], s[0:1], 0x58
	s_wait_kmcnt 0x0
	s_bitcmp1_b32 s18, 0
	s_cselect_b32 s3, s7, s3
	s_cselect_b32 s2, s6, s2
	;; [unrolled: 1-line block ×4, first 2 shown]
	s_clause 0x1
	flat_load_b64 v[2:3], v1, s[2:3]
	flat_load_b64 v[4:5], v1, s[4:5]
	s_wait_loadcnt_dscnt 0x101
	s_wait_xcnt 0x1
	v_cmp_eq_f32_e64 s2, 0, v2
	v_cmp_eq_f32_e64 s3, 0, v3
	s_wait_loadcnt_dscnt 0x0
	v_cmp_eq_f32_e64 s4, 1.0, v4
	v_cmp_eq_f32_e32 vcc_lo, 0, v5
	s_and_b32 s2, s2, s3
	s_and_b32 s3, s4, vcc_lo
	s_delay_alu instid0(SALU_CYCLE_1) | instskip(NEXT) | instid1(SALU_CYCLE_1)
	s_and_b32 s2, s2, s3
	s_xor_b32 s2, s2, -1
	s_delay_alu instid0(SALU_CYCLE_1)
	s_and_saveexec_b32 s3, s2
	s_cbranch_execz .LBB48_25
; %bb.1:
	s_clause 0x1
	s_load_b32 s2, s[0:1], 0x94
	s_load_b96 s[20:22], s[0:1], 0x0
	s_bfe_u32 s3, ttmp6, 0x4000c
	s_and_b32 s4, ttmp6, 15
	s_add_co_i32 s3, s3, 1
	s_getreg_b32 s5, hwreg(HW_REG_IB_STS2, 6, 4)
	s_mul_i32 s3, ttmp9, s3
	s_delay_alu instid0(SALU_CYCLE_1) | instskip(SKIP_4) | instid1(SALU_CYCLE_1)
	s_add_co_i32 s4, s4, s3
	s_wait_kmcnt 0x0
	s_and_b32 s2, s2, 0xffff
	s_cmp_eq_u32 s5, 0
	s_cselect_b32 s3, ttmp9, s4
	v_mad_u32 v1, s3, s2, v0
	s_delay_alu instid0(VALU_DEP_1) | instskip(NEXT) | instid1(VALU_DEP_1)
	v_lshrrev_b32_e32 v6, 7, v1
	v_cmp_gt_i32_e64 s2, s21, v6
	s_and_b32 exec_lo, exec_lo, s2
	s_cbranch_execz .LBB48_25
; %bb.2:
	s_cmp_lt_i32 s22, 1
	s_cbranch_scc1 .LBB48_25
; %bb.3:
	s_load_b256 s[4:11], s[0:1], 0x28
	v_dual_lshlrev_b32 v6, 2, v6 :: v_dual_lshrrev_b32 v10, 6, v1
	s_clause 0x1
	s_load_b128 s[12:15], s[0:1], 0x60
	s_load_b64 s[2:3], s[0:1], 0x48
	v_bfe_u32 v9, v1, 6, 1
	v_mov_b32_e32 v11, 0
	s_wait_xcnt 0x0
	v_cmp_neq_f32_e64 s0, 0, v4
	s_cmp_eq_u32 s20, 0
	v_lshl_or_b32 v1, v0, 2, 0x600
	v_dual_lshlrev_b32 v16, 1, v9 :: v_dual_bitop2_b32 v17, 2, v9 bitop3:0x54
	s_cselect_b32 s1, -1, 0
	v_mul_u32_u24_e32 v24, 24, v0
	v_xor_b32_e32 v8, 0x80000000, v5
	s_delay_alu instid0(VALU_DEP_3)
	v_dual_mov_b32 v7, v2 :: v_dual_bitop2_b32 v18, 1, v16 bitop3:0x54
	v_dual_cndmask_b32 v25, v9, v16, s1 :: v_dual_mov_b32 v9, v4
	s_wait_kmcnt 0x0
	global_load_b64 v[14:15], v6, s[4:5]
	s_wait_xcnt 0x0
	s_xor_b32 s4, vcc_lo, -1
	v_xor_b32_e32 v6, 0x80000000, v3
	v_mul_u64_e32 v[12:13], s[14:15], v[10:11]
	v_lshlrev_b32_e32 v10, 3, v10
	s_or_b32 s4, s0, s4
	v_cndmask_b32_e64 v26, v17, v18, s1
	s_cmp_lg_u32 s16, 1
	s_mov_b32 s5, 0
	v_add_nc_u64_e32 v[10:11], s[12:13], v[10:11]
	s_delay_alu instid0(VALU_DEP_4)
	v_lshl_add_u64 v[12:13], v[12:13], 3, s[12:13]
	s_cselect_b32 s12, -1, 0
	s_wait_loadcnt 0x0
	v_subrev_nc_u32_e32 v27, s17, v14
	v_subrev_nc_u32_e32 v28, s17, v15
	v_cmp_lt_i32_e64 s0, v14, v15
	s_branch .LBB48_5
.LBB48_4:                               ;   in Loop: Header=BB48_5 Depth=1
	s_wait_xcnt 0x0
	s_or_b32 exec_lo, exec_lo, s1
	s_add_co_i32 s5, s5, 64
	s_delay_alu instid0(SALU_CYCLE_1)
	s_cmp_lt_i32 s5, s22
	s_cbranch_scc0 .LBB48_25
.LBB48_5:                               ; =>This Loop Header: Depth=1
                                        ;     Child Loop BB48_8 Depth 2
                                        ;       Child Loop BB48_12 Depth 3
	v_or_b32_e32 v14, s5, v0
	v_mov_b64_e32 v[16:17], 0
	s_delay_alu instid0(VALU_DEP_2)
	v_ashrrev_i32_e32 v15, 31, v14
	s_and_saveexec_b32 s13, s0
	s_cbranch_execz .LBB48_14
; %bb.6:                                ;   in Loop: Header=BB48_5 Depth=1
	v_mov_b64_e32 v[16:17], 0
	s_delay_alu instid0(VALU_DEP_2)
	v_lshl_add_u64 v[18:19], v[14:15], 3, s[10:11]
	v_mov_b32_e32 v29, v27
	s_mov_b32 s16, 0
	v_cmp_gt_i32_e32 vcc_lo, s22, v14
	s_branch .LBB48_8
.LBB48_7:                               ;   in Loop: Header=BB48_8 Depth=2
	s_or_b32 exec_lo, exec_lo, s1
	v_add_nc_u32_e32 v29, 64, v29
	s_delay_alu instid0(VALU_DEP_1) | instskip(SKIP_1) | instid1(SALU_CYCLE_1)
	v_cmp_ge_i32_e64 s1, v29, v28
	s_or_b32 s16, s1, s16
	s_and_not1_b32 exec_lo, exec_lo, s16
	s_cbranch_execz .LBB48_13
.LBB48_8:                               ;   Parent Loop BB48_5 Depth=1
                                        ; =>  This Loop Header: Depth=2
                                        ;       Child Loop BB48_12 Depth 3
	s_delay_alu instid0(VALU_DEP_2) | instskip(SKIP_3) | instid1(VALU_DEP_3)
	v_dual_mov_b32 v30, 0 :: v_dual_add_nc_u32 v31, v29, v0
	v_dual_mov_b32 v20, 0 :: v_dual_mov_b32 v21, 0
	v_dual_mov_b32 v22, 0 :: v_dual_mov_b32 v23, 0
	s_mov_b32 s18, exec_lo
	v_cmpx_lt_i32_e64 v31, v28
	s_cbranch_execz .LBB48_10
; %bb.9:                                ;   in Loop: Header=BB48_8 Depth=2
	global_load_b32 v30, v31, s[6:7] scale_offset
	s_wait_loadcnt 0x0
	v_subrev_nc_u32_e32 v30, s17, v30
	s_delay_alu instid0(VALU_DEP_1) | instskip(SKIP_1) | instid1(VALU_DEP_1)
	v_dual_lshlrev_b32 v20, 2, v31 :: v_dual_lshlrev_b32 v30, 1, v30
	s_wait_xcnt 0x0
	v_or_b32_e32 v31, v20, v25
	v_or_b32_e32 v32, v20, v26
	s_clause 0x1
	global_load_b64 v[20:21], v31, s[8:9] scale_offset
	global_load_b64 v[22:23], v32, s[8:9] scale_offset
.LBB48_10:                              ;   in Loop: Header=BB48_8 Depth=2
	s_wait_xcnt 0x0
	s_or_b32 exec_lo, exec_lo, s18
	ds_store_b32 v1, v30
	s_wait_loadcnt 0x0
	ds_store_2addr_b64 v24, v[20:21], v[22:23] offset1:1
	s_wait_dscnt 0x0
	s_barrier_signal -1
	s_barrier_wait -1
	s_and_saveexec_b32 s1, vcc_lo
	s_cbranch_execz .LBB48_7
; %bb.11:                               ;   in Loop: Header=BB48_8 Depth=2
	v_mov_b32_e32 v20, 0
	s_mov_b32 s18, 0
.LBB48_12:                              ;   Parent Loop BB48_5 Depth=1
                                        ;     Parent Loop BB48_8 Depth=2
                                        ; =>    This Inner Loop Header: Depth=3
	s_delay_alu instid0(SALU_CYCLE_1) | instskip(SKIP_1) | instid1(SALU_CYCLE_1)
	v_add_nc_u32_e64 v21, 0x600, s18
	s_add_co_i32 s18, s18, 8
	s_cmp_lg_u32 s18, 0x100
	ds_load_b64 v[22:23], v21
	s_wait_dscnt 0x0
	v_dual_mov_b32 v30, v22 :: v_dual_ashrrev_i32 v31, 31, v22
	v_dual_add_nc_u32 v32, 1, v22 :: v_dual_ashrrev_i32 v35, 31, v23
	v_dual_add_nc_u32 v22, 1, v23 :: v_dual_mov_b32 v34, v23
	s_delay_alu instid0(VALU_DEP_3) | instskip(NEXT) | instid1(VALU_DEP_2)
	v_mul_u64_e32 v[30:31], s[2:3], v[30:31]
	v_dual_ashrrev_i32 v33, 31, v32 :: v_dual_ashrrev_i32 v23, 31, v22
	s_delay_alu instid0(VALU_DEP_3) | instskip(NEXT) | instid1(VALU_DEP_2)
	v_mul_u64_e32 v[34:35], s[2:3], v[34:35]
	v_mul_u64_e32 v[32:33], s[2:3], v[32:33]
	s_delay_alu instid0(VALU_DEP_3)
	v_mul_u64_e32 v[22:23], s[2:3], v[22:23]
	v_lshl_add_u64 v[30:31], v[30:31], 3, v[18:19]
	global_load_b64 v[38:39], v[30:31], off
	v_lshl_add_u64 v[22:23], v[22:23], 3, v[18:19]
	global_load_b64 v[22:23], v[22:23], off
	s_wait_xcnt 0x1
	v_lshl_add_u64 v[30:31], v[32:33], 3, v[18:19]
	global_load_b64 v[40:41], v[30:31], off
	s_wait_xcnt 0x0
	v_lshl_add_u64 v[30:31], v[34:35], 3, v[18:19]
	global_load_b64 v[42:43], v[30:31], off
	s_wait_xcnt 0x0
	ds_load_b128 v[30:33], v20
	ds_load_2addr_b64 v[34:37], v20 offset0:3 offset1:4
	v_add_nc_u32_e32 v20, 48, v20
	s_wait_loadcnt_dscnt 0x301
	v_pk_fma_f32 v[16:17], v[30:31], v[38:39], v[16:17] op_sel_hi:[1,0,1]
	s_delay_alu instid0(VALU_DEP_1) | instskip(SKIP_3) | instid1(VALU_DEP_3)
	v_pk_fma_f32 v[16:17], v[30:31], v[38:39], v[16:17] op_sel:[1,1,0] op_sel_hi:[0,1,1] neg_lo:[1,0,0]
	v_xor_b32_e32 v30, 0x80000000, v33
	v_mov_b32_e32 v31, v32
	s_wait_loadcnt 0x1
	v_pk_fma_f32 v[16:17], v[32:33], v[40:41], v[16:17] op_sel_hi:[1,0,1]
	s_delay_alu instid0(VALU_DEP_1)
	v_pk_fma_f32 v[16:17], v[30:31], v[40:41], v[16:17] op_sel:[0,1,0]
	s_wait_dscnt 0x0
	v_xor_b32_e32 v30, 0x80000000, v37
	v_mov_b32_e32 v31, v36
	s_wait_loadcnt 0x0
	v_pk_fma_f32 v[16:17], v[34:35], v[42:43], v[16:17] op_sel_hi:[1,0,1]
	s_delay_alu instid0(VALU_DEP_1) | instskip(NEXT) | instid1(VALU_DEP_1)
	v_pk_fma_f32 v[16:17], v[34:35], v[42:43], v[16:17] op_sel:[1,1,0] op_sel_hi:[0,1,1] neg_lo:[1,0,0]
	v_pk_fma_f32 v[16:17], v[36:37], v[22:23], v[16:17] op_sel_hi:[1,0,1]
	s_delay_alu instid0(VALU_DEP_1)
	v_pk_fma_f32 v[16:17], v[30:31], v[22:23], v[16:17] op_sel:[0,1,0]
	s_cbranch_scc1 .LBB48_12
	s_branch .LBB48_7
.LBB48_13:                              ;   in Loop: Header=BB48_5 Depth=1
	s_or_b32 exec_lo, exec_lo, s16
.LBB48_14:                              ;   in Loop: Header=BB48_5 Depth=1
	s_delay_alu instid0(SALU_CYCLE_1) | instskip(NEXT) | instid1(SALU_CYCLE_1)
	s_or_b32 exec_lo, exec_lo, s13
	s_mov_b32 s1, exec_lo
	v_cmpx_gt_i32_e64 s22, v14
	s_cbranch_execz .LBB48_4
; %bb.15:                               ;   in Loop: Header=BB48_5 Depth=1
	s_and_saveexec_b32 s13, s4
	s_delay_alu instid0(SALU_CYCLE_1)
	s_xor_b32 s13, exec_lo, s13
	s_cbranch_execz .LBB48_20
; %bb.16:                               ;   in Loop: Header=BB48_5 Depth=1
	s_and_b32 vcc_lo, exec_lo, s12
	s_mov_b32 s16, -1
	s_cbranch_vccz .LBB48_18
; %bb.17:                               ;   in Loop: Header=BB48_5 Depth=1
	v_lshl_add_u64 v[18:19], v[14:15], 3, v[12:13]
	v_pk_mul_f32 v[22:23], v[16:17], v[6:7] op_sel:[1,0]
	s_mov_b32 s16, 0
	global_load_b64 v[20:21], v[18:19], off
	v_pk_fma_f32 v[22:23], v[2:3], v[16:17], v[22:23] op_sel_hi:[1,0,1]
	s_wait_loadcnt 0x0
	s_delay_alu instid0(VALU_DEP_1) | instskip(NEXT) | instid1(VALU_DEP_1)
	v_pk_fma_f32 v[22:23], v[4:5], v[20:21], v[22:23] op_sel_hi:[1,0,1]
	v_pk_fma_f32 v[20:21], v[8:9], v[20:21], v[22:23] op_sel:[0,1,0]
	global_store_b64 v[18:19], v[20:21], off
.LBB48_18:                              ;   in Loop: Header=BB48_5 Depth=1
	s_and_not1_b32 vcc_lo, exec_lo, s16
	s_cbranch_vccnz .LBB48_20
; %bb.19:                               ;   in Loop: Header=BB48_5 Depth=1
	v_mul_u64_e32 v[14:15], s[14:15], v[14:15]
	s_wait_xcnt 0x0
	v_pk_mul_f32 v[20:21], v[16:17], v[6:7] op_sel:[1,0]
	s_delay_alu instid0(VALU_DEP_1) | instskip(NEXT) | instid1(VALU_DEP_3)
	v_pk_fma_f32 v[16:17], v[2:3], v[16:17], v[20:21] op_sel_hi:[1,0,1]
	v_lshl_add_u64 v[14:15], v[14:15], 3, v[10:11]
	global_load_b64 v[18:19], v[14:15], off
	s_wait_loadcnt 0x0
	v_pk_fma_f32 v[16:17], v[4:5], v[18:19], v[16:17] op_sel_hi:[1,0,1]
	s_delay_alu instid0(VALU_DEP_1)
	v_pk_fma_f32 v[16:17], v[8:9], v[18:19], v[16:17] op_sel:[0,1,0]
	global_store_b64 v[14:15], v[16:17], off
                                        ; implicit-def: $vgpr16_vgpr17
                                        ; implicit-def: $vgpr14
.LBB48_20:                              ;   in Loop: Header=BB48_5 Depth=1
	s_wait_xcnt 0x0
	s_and_not1_saveexec_b32 s13, s13
	s_cbranch_execz .LBB48_4
; %bb.21:                               ;   in Loop: Header=BB48_5 Depth=1
	v_pk_mul_f32 v[18:19], v[16:17], v[6:7] op_sel:[1,0]
	s_and_b32 vcc_lo, exec_lo, s12
	s_mov_b32 s13, -1
	s_delay_alu instid0(VALU_DEP_1)
	v_pk_fma_f32 v[16:17], v[2:3], v[16:17], v[18:19] op_sel_hi:[1,0,1]
	s_cbranch_vccz .LBB48_23
; %bb.22:                               ;   in Loop: Header=BB48_5 Depth=1
	v_lshl_add_u64 v[18:19], v[14:15], 3, v[12:13]
	s_mov_b32 s13, 0
	global_store_b64 v[18:19], v[16:17], off
.LBB48_23:                              ;   in Loop: Header=BB48_5 Depth=1
	s_and_not1_b32 vcc_lo, exec_lo, s13
	s_cbranch_vccnz .LBB48_4
; %bb.24:                               ;   in Loop: Header=BB48_5 Depth=1
	v_mul_u64_e32 v[14:15], s[14:15], v[14:15]
	s_delay_alu instid0(VALU_DEP_1)
	v_lshl_add_u64 v[14:15], v[14:15], 3, v[10:11]
	global_store_b64 v[14:15], v[16:17], off
	s_branch .LBB48_4
.LBB48_25:
	s_endpgm
	.section	.rodata,"a",@progbits
	.p2align	6, 0x0
	.amdhsa_kernel _ZN9rocsparseL29bsrmmnt_small_blockdim_kernelILj64ELj64ELj2Eii21rocsparse_complex_numIfES2_S2_S2_EEv20rocsparse_direction_T3_S4_llNS_24const_host_device_scalarIT7_EEPKT2_PKS4_PKT4_PKT5_llS7_PT6_ll16rocsparse_order_21rocsparse_index_base_b
		.amdhsa_group_segment_fixed_size 1792
		.amdhsa_private_segment_fixed_size 0
		.amdhsa_kernarg_size 392
		.amdhsa_user_sgpr_count 2
		.amdhsa_user_sgpr_dispatch_ptr 0
		.amdhsa_user_sgpr_queue_ptr 0
		.amdhsa_user_sgpr_kernarg_segment_ptr 1
		.amdhsa_user_sgpr_dispatch_id 0
		.amdhsa_user_sgpr_kernarg_preload_length 0
		.amdhsa_user_sgpr_kernarg_preload_offset 0
		.amdhsa_user_sgpr_private_segment_size 0
		.amdhsa_wavefront_size32 1
		.amdhsa_uses_dynamic_stack 0
		.amdhsa_enable_private_segment 0
		.amdhsa_system_sgpr_workgroup_id_x 1
		.amdhsa_system_sgpr_workgroup_id_y 0
		.amdhsa_system_sgpr_workgroup_id_z 0
		.amdhsa_system_sgpr_workgroup_info 0
		.amdhsa_system_vgpr_workitem_id 0
		.amdhsa_next_free_vgpr 44
		.amdhsa_next_free_sgpr 23
		.amdhsa_named_barrier_count 0
		.amdhsa_reserve_vcc 1
		.amdhsa_float_round_mode_32 0
		.amdhsa_float_round_mode_16_64 0
		.amdhsa_float_denorm_mode_32 3
		.amdhsa_float_denorm_mode_16_64 3
		.amdhsa_fp16_overflow 0
		.amdhsa_memory_ordered 1
		.amdhsa_forward_progress 1
		.amdhsa_inst_pref_size 12
		.amdhsa_round_robin_scheduling 0
		.amdhsa_exception_fp_ieee_invalid_op 0
		.amdhsa_exception_fp_denorm_src 0
		.amdhsa_exception_fp_ieee_div_zero 0
		.amdhsa_exception_fp_ieee_overflow 0
		.amdhsa_exception_fp_ieee_underflow 0
		.amdhsa_exception_fp_ieee_inexact 0
		.amdhsa_exception_int_div_zero 0
	.end_amdhsa_kernel
	.section	.text._ZN9rocsparseL29bsrmmnt_small_blockdim_kernelILj64ELj64ELj2Eii21rocsparse_complex_numIfES2_S2_S2_EEv20rocsparse_direction_T3_S4_llNS_24const_host_device_scalarIT7_EEPKT2_PKS4_PKT4_PKT5_llS7_PT6_ll16rocsparse_order_21rocsparse_index_base_b,"axG",@progbits,_ZN9rocsparseL29bsrmmnt_small_blockdim_kernelILj64ELj64ELj2Eii21rocsparse_complex_numIfES2_S2_S2_EEv20rocsparse_direction_T3_S4_llNS_24const_host_device_scalarIT7_EEPKT2_PKS4_PKT4_PKT5_llS7_PT6_ll16rocsparse_order_21rocsparse_index_base_b,comdat
.Lfunc_end48:
	.size	_ZN9rocsparseL29bsrmmnt_small_blockdim_kernelILj64ELj64ELj2Eii21rocsparse_complex_numIfES2_S2_S2_EEv20rocsparse_direction_T3_S4_llNS_24const_host_device_scalarIT7_EEPKT2_PKS4_PKT4_PKT5_llS7_PT6_ll16rocsparse_order_21rocsparse_index_base_b, .Lfunc_end48-_ZN9rocsparseL29bsrmmnt_small_blockdim_kernelILj64ELj64ELj2Eii21rocsparse_complex_numIfES2_S2_S2_EEv20rocsparse_direction_T3_S4_llNS_24const_host_device_scalarIT7_EEPKT2_PKS4_PKT4_PKT5_llS7_PT6_ll16rocsparse_order_21rocsparse_index_base_b
                                        ; -- End function
	.set _ZN9rocsparseL29bsrmmnt_small_blockdim_kernelILj64ELj64ELj2Eii21rocsparse_complex_numIfES2_S2_S2_EEv20rocsparse_direction_T3_S4_llNS_24const_host_device_scalarIT7_EEPKT2_PKS4_PKT4_PKT5_llS7_PT6_ll16rocsparse_order_21rocsparse_index_base_b.num_vgpr, 44
	.set _ZN9rocsparseL29bsrmmnt_small_blockdim_kernelILj64ELj64ELj2Eii21rocsparse_complex_numIfES2_S2_S2_EEv20rocsparse_direction_T3_S4_llNS_24const_host_device_scalarIT7_EEPKT2_PKS4_PKT4_PKT5_llS7_PT6_ll16rocsparse_order_21rocsparse_index_base_b.num_agpr, 0
	.set _ZN9rocsparseL29bsrmmnt_small_blockdim_kernelILj64ELj64ELj2Eii21rocsparse_complex_numIfES2_S2_S2_EEv20rocsparse_direction_T3_S4_llNS_24const_host_device_scalarIT7_EEPKT2_PKS4_PKT4_PKT5_llS7_PT6_ll16rocsparse_order_21rocsparse_index_base_b.numbered_sgpr, 23
	.set _ZN9rocsparseL29bsrmmnt_small_blockdim_kernelILj64ELj64ELj2Eii21rocsparse_complex_numIfES2_S2_S2_EEv20rocsparse_direction_T3_S4_llNS_24const_host_device_scalarIT7_EEPKT2_PKS4_PKT4_PKT5_llS7_PT6_ll16rocsparse_order_21rocsparse_index_base_b.num_named_barrier, 0
	.set _ZN9rocsparseL29bsrmmnt_small_blockdim_kernelILj64ELj64ELj2Eii21rocsparse_complex_numIfES2_S2_S2_EEv20rocsparse_direction_T3_S4_llNS_24const_host_device_scalarIT7_EEPKT2_PKS4_PKT4_PKT5_llS7_PT6_ll16rocsparse_order_21rocsparse_index_base_b.private_seg_size, 0
	.set _ZN9rocsparseL29bsrmmnt_small_blockdim_kernelILj64ELj64ELj2Eii21rocsparse_complex_numIfES2_S2_S2_EEv20rocsparse_direction_T3_S4_llNS_24const_host_device_scalarIT7_EEPKT2_PKS4_PKT4_PKT5_llS7_PT6_ll16rocsparse_order_21rocsparse_index_base_b.uses_vcc, 1
	.set _ZN9rocsparseL29bsrmmnt_small_blockdim_kernelILj64ELj64ELj2Eii21rocsparse_complex_numIfES2_S2_S2_EEv20rocsparse_direction_T3_S4_llNS_24const_host_device_scalarIT7_EEPKT2_PKS4_PKT4_PKT5_llS7_PT6_ll16rocsparse_order_21rocsparse_index_base_b.uses_flat_scratch, 1
	.set _ZN9rocsparseL29bsrmmnt_small_blockdim_kernelILj64ELj64ELj2Eii21rocsparse_complex_numIfES2_S2_S2_EEv20rocsparse_direction_T3_S4_llNS_24const_host_device_scalarIT7_EEPKT2_PKS4_PKT4_PKT5_llS7_PT6_ll16rocsparse_order_21rocsparse_index_base_b.has_dyn_sized_stack, 0
	.set _ZN9rocsparseL29bsrmmnt_small_blockdim_kernelILj64ELj64ELj2Eii21rocsparse_complex_numIfES2_S2_S2_EEv20rocsparse_direction_T3_S4_llNS_24const_host_device_scalarIT7_EEPKT2_PKS4_PKT4_PKT5_llS7_PT6_ll16rocsparse_order_21rocsparse_index_base_b.has_recursion, 0
	.set _ZN9rocsparseL29bsrmmnt_small_blockdim_kernelILj64ELj64ELj2Eii21rocsparse_complex_numIfES2_S2_S2_EEv20rocsparse_direction_T3_S4_llNS_24const_host_device_scalarIT7_EEPKT2_PKS4_PKT4_PKT5_llS7_PT6_ll16rocsparse_order_21rocsparse_index_base_b.has_indirect_call, 0
	.section	.AMDGPU.csdata,"",@progbits
; Kernel info:
; codeLenInByte = 1496
; TotalNumSgprs: 25
; NumVgprs: 44
; ScratchSize: 0
; MemoryBound: 0
; FloatMode: 240
; IeeeMode: 1
; LDSByteSize: 1792 bytes/workgroup (compile time only)
; SGPRBlocks: 0
; VGPRBlocks: 2
; NumSGPRsForWavesPerEU: 25
; NumVGPRsForWavesPerEU: 44
; NamedBarCnt: 0
; Occupancy: 16
; WaveLimiterHint : 0
; COMPUTE_PGM_RSRC2:SCRATCH_EN: 0
; COMPUTE_PGM_RSRC2:USER_SGPR: 2
; COMPUTE_PGM_RSRC2:TRAP_HANDLER: 0
; COMPUTE_PGM_RSRC2:TGID_X_EN: 1
; COMPUTE_PGM_RSRC2:TGID_Y_EN: 0
; COMPUTE_PGM_RSRC2:TGID_Z_EN: 0
; COMPUTE_PGM_RSRC2:TIDIG_COMP_CNT: 0
	.section	.text._ZN9rocsparseL29bsrmmnt_small_blockdim_kernelILj64ELj8ELj2Eli21rocsparse_complex_numIfES2_S2_S2_EEv20rocsparse_direction_T3_S4_llNS_24const_host_device_scalarIT7_EEPKT2_PKS4_PKT4_PKT5_llS7_PT6_ll16rocsparse_order_21rocsparse_index_base_b,"axG",@progbits,_ZN9rocsparseL29bsrmmnt_small_blockdim_kernelILj64ELj8ELj2Eli21rocsparse_complex_numIfES2_S2_S2_EEv20rocsparse_direction_T3_S4_llNS_24const_host_device_scalarIT7_EEPKT2_PKS4_PKT4_PKT5_llS7_PT6_ll16rocsparse_order_21rocsparse_index_base_b,comdat
	.globl	_ZN9rocsparseL29bsrmmnt_small_blockdim_kernelILj64ELj8ELj2Eli21rocsparse_complex_numIfES2_S2_S2_EEv20rocsparse_direction_T3_S4_llNS_24const_host_device_scalarIT7_EEPKT2_PKS4_PKT4_PKT5_llS7_PT6_ll16rocsparse_order_21rocsparse_index_base_b ; -- Begin function _ZN9rocsparseL29bsrmmnt_small_blockdim_kernelILj64ELj8ELj2Eli21rocsparse_complex_numIfES2_S2_S2_EEv20rocsparse_direction_T3_S4_llNS_24const_host_device_scalarIT7_EEPKT2_PKS4_PKT4_PKT5_llS7_PT6_ll16rocsparse_order_21rocsparse_index_base_b
	.p2align	8
	.type	_ZN9rocsparseL29bsrmmnt_small_blockdim_kernelILj64ELj8ELj2Eli21rocsparse_complex_numIfES2_S2_S2_EEv20rocsparse_direction_T3_S4_llNS_24const_host_device_scalarIT7_EEPKT2_PKS4_PKT4_PKT5_llS7_PT6_ll16rocsparse_order_21rocsparse_index_base_b,@function
_ZN9rocsparseL29bsrmmnt_small_blockdim_kernelILj64ELj8ELj2Eli21rocsparse_complex_numIfES2_S2_S2_EEv20rocsparse_direction_T3_S4_llNS_24const_host_device_scalarIT7_EEPKT2_PKS4_PKT4_PKT5_llS7_PT6_ll16rocsparse_order_21rocsparse_index_base_b: ; @_ZN9rocsparseL29bsrmmnt_small_blockdim_kernelILj64ELj8ELj2Eli21rocsparse_complex_numIfES2_S2_S2_EEv20rocsparse_direction_T3_S4_llNS_24const_host_device_scalarIT7_EEPKT2_PKS4_PKT4_PKT5_llS7_PT6_ll16rocsparse_order_21rocsparse_index_base_b
; %bb.0:
	s_clause 0x2
	s_load_b96 s[16:18], s[0:1], 0x78
	s_load_b64 s[2:3], s[0:1], 0x20
	s_load_b64 s[4:5], s[0:1], 0x58
	v_mov_b32_e32 v1, 0
	s_add_nc_u64 s[6:7], s[0:1], 32
	s_add_nc_u64 s[8:9], s[0:1], 0x58
	s_wait_kmcnt 0x0
	s_bitcmp1_b32 s18, 0
	s_cselect_b32 s3, s7, s3
	s_cselect_b32 s2, s6, s2
	;; [unrolled: 1-line block ×4, first 2 shown]
	s_clause 0x1
	flat_load_b64 v[2:3], v1, s[2:3]
	flat_load_b64 v[4:5], v1, s[4:5]
	s_wait_loadcnt_dscnt 0x101
	s_wait_xcnt 0x1
	v_cmp_eq_f32_e64 s2, 0, v2
	v_cmp_eq_f32_e64 s3, 0, v3
	s_wait_loadcnt_dscnt 0x0
	v_cmp_eq_f32_e64 s4, 1.0, v4
	v_cmp_eq_f32_e32 vcc_lo, 0, v5
	s_and_b32 s2, s2, s3
	s_and_b32 s3, s4, vcc_lo
	s_delay_alu instid0(SALU_CYCLE_1) | instskip(NEXT) | instid1(SALU_CYCLE_1)
	s_and_b32 s2, s2, s3
	s_xor_b32 s2, s2, -1
	s_delay_alu instid0(SALU_CYCLE_1)
	s_and_saveexec_b32 s3, s2
	s_cbranch_execz .LBB49_25
; %bb.1:
	s_clause 0x1
	s_load_b32 s2, s[0:1], 0x94
	s_load_b96 s[20:22], s[0:1], 0x0
	s_bfe_u32 s3, ttmp6, 0x4000c
	s_and_b32 s4, ttmp6, 15
	s_add_co_i32 s3, s3, 1
	s_getreg_b32 s5, hwreg(HW_REG_IB_STS2, 6, 4)
	s_mul_i32 s3, ttmp9, s3
	s_delay_alu instid0(SALU_CYCLE_1) | instskip(SKIP_4) | instid1(SALU_CYCLE_1)
	s_add_co_i32 s4, s4, s3
	s_wait_kmcnt 0x0
	s_and_b32 s2, s2, 0xffff
	s_cmp_eq_u32 s5, 0
	s_cselect_b32 s3, ttmp9, s4
	v_mad_u32 v1, s3, s2, v0
	s_delay_alu instid0(VALU_DEP_1) | instskip(NEXT) | instid1(VALU_DEP_1)
	v_lshrrev_b32_e32 v6, 4, v1
	v_cmp_gt_i32_e64 s2, s21, v6
	s_and_b32 exec_lo, exec_lo, s2
	s_cbranch_execz .LBB49_25
; %bb.2:
	s_cmp_lt_i32 s22, 1
	s_cbranch_scc1 .LBB49_25
; %bb.3:
	s_load_b256 s[4:11], s[0:1], 0x28
	v_dual_mov_b32 v7, 0 :: v_dual_lshlrev_b32 v6, 3, v6
	s_clause 0x1
	s_load_b128 s[12:15], s[0:1], 0x60
	s_load_b64 s[2:3], s[0:1], 0x48
	v_lshrrev_b32_e32 v8, 3, v1
	s_wait_xcnt 0x0
	v_cmp_neq_f32_e64 s0, 0, v4
	v_mov_b32_e32 v9, v7
	s_xor_b32 s1, vcc_lo, -1
	v_dual_lshrrev_b32 v12, 3, v0 :: v_dual_bitop2_b32 v10, -8, v1 bitop3:0x40
	s_or_b32 s18, s0, s1
	s_cmp_lg_u32 s16, 1
	s_cselect_b32 s16, -1, 0
	s_cmp_eq_u32 s20, 0
	v_lshl_or_b32 v34, v12, 5, 0x600
	s_cselect_b32 s0, -1, 0
	v_mul_u32_u24_e32 v35, 0xc0, v12
	v_cndmask_b32_e64 v11, 0, 1, s0
	s_wait_kmcnt 0x0
	global_load_b128 v[20:23], v6, s[4:5]
	s_wait_xcnt 0x0
	v_and_b32_e32 v6, 7, v0
	s_mov_b32 s5, 0
	v_mul_u64_e32 v[14:15], s[14:15], v[8:9]
	v_bfe_u32 v9, v1, 3, 1
	s_mov_b32 s4, s17
	v_mul_u32_u24_e32 v24, 24, v6
	s_and_b32 s0, s0, exec_lo
	v_xor_b32_e32 v0, 0x80000000, v3
	v_dual_lshlrev_b32 v1, v11, v9 :: v_dual_mov_b32 v9, v4
	v_dual_mov_b32 v11, v7 :: v_dual_mov_b32 v13, v7
	v_xor_b32_e32 v8, 0x80000000, v5
	s_delay_alu instid0(VALU_DEP_3) | instskip(SKIP_1) | instid1(VALU_DEP_4)
	v_lshlrev_b32_e32 v12, 3, v1
	v_lshl_or_b32 v36, v6, 2, v34
	v_add_nc_u64_e32 v[10:11], s[12:13], v[10:11]
	v_dual_mov_b32 v1, v2 :: v_dual_add_nc_u32 v37, v35, v24
	s_delay_alu instid0(VALU_DEP_4)
	v_add_nc_u64_e32 v[12:13], s[8:9], v[12:13]
	s_cselect_b32 s8, 12, 20
	s_mov_b32 s9, s5
	v_lshl_add_u64 v[14:15], v[14:15], 3, s[12:13]
	s_mov_b32 s12, s5
	s_wait_loadcnt 0x0
	v_sub_nc_u64_e64 v[16:17], v[20:21], s[4:5]
	v_sub_nc_u64_e64 v[18:19], v[22:23], s[4:5]
	v_cmp_lt_i64_e64 s0, v[20:21], v[22:23]
	s_cselect_b32 s4, 8, 16
	s_branch .LBB49_5
.LBB49_4:                               ;   in Loop: Header=BB49_5 Depth=1
	s_wait_xcnt 0x0
	s_or_b32 exec_lo, exec_lo, s1
	s_add_co_i32 s12, s12, 8
	s_delay_alu instid0(SALU_CYCLE_1)
	s_cmp_lt_i32 s12, s22
	s_cbranch_scc0 .LBB49_25
.LBB49_5:                               ; =>This Loop Header: Depth=1
                                        ;     Child Loop BB49_8 Depth 2
                                        ;       Child Loop BB49_12 Depth 3
	v_or_b32_e32 v20, s12, v6
	v_mov_b64_e32 v[22:23], 0
	s_delay_alu instid0(VALU_DEP_2)
	v_ashrrev_i32_e32 v21, 31, v20
	s_and_saveexec_b32 s13, s0
	s_cbranch_execz .LBB49_14
; %bb.6:                                ;   in Loop: Header=BB49_5 Depth=1
	v_mov_b64_e32 v[22:23], 0
	v_mov_b64_e32 v[26:27], v[16:17]
	v_lshl_add_u64 v[24:25], v[20:21], 3, s[10:11]
	s_mov_b32 s19, 0
	v_cmp_gt_i32_e32 vcc_lo, s22, v20
	s_branch .LBB49_8
.LBB49_7:                               ;   in Loop: Header=BB49_8 Depth=2
	s_or_b32 exec_lo, exec_lo, s1
	v_add_nc_u64_e32 v[26:27], 8, v[26:27]
	s_delay_alu instid0(VALU_DEP_1) | instskip(SKIP_1) | instid1(SALU_CYCLE_1)
	v_cmp_ge_i64_e64 s1, v[26:27], v[18:19]
	s_or_b32 s19, s1, s19
	s_and_not1_b32 exec_lo, exec_lo, s19
	s_cbranch_execz .LBB49_13
.LBB49_8:                               ;   Parent Loop BB49_5 Depth=1
                                        ; =>  This Loop Header: Depth=2
                                        ;       Child Loop BB49_12 Depth 3
	s_delay_alu instid0(VALU_DEP_3) | instskip(SKIP_4) | instid1(VALU_DEP_4)
	v_add_nc_u64_e32 v[32:33], v[26:27], v[6:7]
	v_dual_mov_b32 v38, 0 :: v_dual_mov_b32 v28, 0
	v_dual_mov_b32 v29, 0 :: v_dual_mov_b32 v30, 0
	v_mov_b32_e32 v31, 0
	s_mov_b32 s20, exec_lo
	v_cmpx_lt_i64_e64 v[32:33], v[18:19]
	s_cbranch_execz .LBB49_10
; %bb.9:                                ;   in Loop: Header=BB49_8 Depth=2
	v_lshlrev_b64_e32 v[28:29], 5, v[32:33]
	v_lshl_add_u64 v[30:31], v[32:33], 2, s[6:7]
	global_load_b32 v42, v[30:31], off
	v_add_nc_u64_e32 v[32:33], v[12:13], v[28:29]
	s_delay_alu instid0(VALU_DEP_1)
	v_add_nc_u64_e32 v[38:39], s[4:5], v[32:33]
	v_add_nc_u64_e32 v[40:41], s[8:9], v[32:33]
	s_clause 0x2
	global_load_b64 v[28:29], v[32:33], off
	global_load_b32 v30, v[38:39], off
	global_load_b32 v31, v[40:41], off
	s_wait_loadcnt 0x3
	s_wait_xcnt 0x2
	v_subrev_nc_u32_e32 v32, s17, v42
	s_wait_xcnt 0x1
	s_delay_alu instid0(VALU_DEP_1)
	v_lshlrev_b32_e32 v38, 1, v32
.LBB49_10:                              ;   in Loop: Header=BB49_8 Depth=2
	s_wait_xcnt 0x0
	s_or_b32 exec_lo, exec_lo, s20
	ds_store_b32 v36, v38
	s_wait_loadcnt 0x0
	ds_store_2addr_b64 v37, v[28:29], v[30:31] offset1:1
	s_wait_dscnt 0x0
	s_barrier_signal -1
	s_barrier_wait -1
	s_and_saveexec_b32 s1, vcc_lo
	s_cbranch_execz .LBB49_7
; %bb.11:                               ;   in Loop: Header=BB49_8 Depth=2
	v_mov_b32_e32 v28, v35
	s_mov_b32 s20, 0
.LBB49_12:                              ;   Parent Loop BB49_5 Depth=1
                                        ;     Parent Loop BB49_8 Depth=2
                                        ; =>    This Inner Loop Header: Depth=3
	s_delay_alu instid0(SALU_CYCLE_1) | instskip(SKIP_1) | instid1(SALU_CYCLE_1)
	v_add_nc_u32_e32 v29, s20, v34
	s_add_co_i32 s20, s20, 8
	s_cmp_lg_u32 s20, 32
	ds_load_b64 v[30:31], v29
	s_wait_dscnt 0x0
	v_dual_ashrrev_i32 v33, 31, v30 :: v_dual_add_nc_u32 v38, 1, v30
	v_dual_mov_b32 v32, v30 :: v_dual_mov_b32 v40, v31
	v_dual_add_nc_u32 v30, 1, v31 :: v_dual_ashrrev_i32 v41, 31, v31
	s_delay_alu instid0(VALU_DEP_3) | instskip(NEXT) | instid1(VALU_DEP_3)
	v_ashrrev_i32_e32 v39, 31, v38
	v_mul_u64_e32 v[32:33], s[2:3], v[32:33]
	s_delay_alu instid0(VALU_DEP_3) | instskip(NEXT) | instid1(VALU_DEP_4)
	v_ashrrev_i32_e32 v31, 31, v30
	v_mul_u64_e32 v[40:41], s[2:3], v[40:41]
	s_delay_alu instid0(VALU_DEP_4) | instskip(NEXT) | instid1(VALU_DEP_3)
	v_mul_u64_e32 v[38:39], s[2:3], v[38:39]
	v_mul_u64_e32 v[30:31], s[2:3], v[30:31]
	v_lshl_add_u64 v[32:33], v[32:33], 3, v[24:25]
	global_load_b64 v[42:43], v[32:33], off
	v_lshl_add_u64 v[30:31], v[30:31], 3, v[24:25]
	global_load_b64 v[48:49], v[30:31], off
	s_wait_xcnt 0x1
	v_lshl_add_u64 v[32:33], v[38:39], 3, v[24:25]
	global_load_b64 v[44:45], v[32:33], off
	s_wait_xcnt 0x0
	;; [unrolled: 3-line block ×3, first 2 shown]
	ds_load_b128 v[30:33], v28
	ds_load_2addr_b64 v[38:41], v28 offset0:3 offset1:4
	v_add_nc_u32_e32 v28, 48, v28
	s_wait_loadcnt_dscnt 0x301
	v_pk_fma_f32 v[22:23], v[30:31], v[42:43], v[22:23] op_sel_hi:[1,0,1]
	s_delay_alu instid0(VALU_DEP_1) | instskip(SKIP_3) | instid1(VALU_DEP_3)
	v_pk_fma_f32 v[22:23], v[30:31], v[42:43], v[22:23] op_sel:[1,1,0] op_sel_hi:[0,1,1] neg_lo:[1,0,0]
	v_xor_b32_e32 v30, 0x80000000, v33
	v_mov_b32_e32 v31, v32
	s_wait_loadcnt 0x1
	v_pk_fma_f32 v[22:23], v[32:33], v[44:45], v[22:23] op_sel_hi:[1,0,1]
	s_delay_alu instid0(VALU_DEP_1)
	v_pk_fma_f32 v[22:23], v[30:31], v[44:45], v[22:23] op_sel:[0,1,0]
	s_wait_dscnt 0x0
	v_xor_b32_e32 v30, 0x80000000, v41
	v_mov_b32_e32 v31, v40
	s_wait_loadcnt 0x0
	v_pk_fma_f32 v[22:23], v[38:39], v[46:47], v[22:23] op_sel_hi:[1,0,1]
	s_delay_alu instid0(VALU_DEP_1) | instskip(NEXT) | instid1(VALU_DEP_1)
	v_pk_fma_f32 v[22:23], v[38:39], v[46:47], v[22:23] op_sel:[1,1,0] op_sel_hi:[0,1,1] neg_lo:[1,0,0]
	v_pk_fma_f32 v[22:23], v[40:41], v[48:49], v[22:23] op_sel_hi:[1,0,1]
	s_delay_alu instid0(VALU_DEP_1)
	v_pk_fma_f32 v[22:23], v[30:31], v[48:49], v[22:23] op_sel:[0,1,0]
	s_cbranch_scc1 .LBB49_12
	s_branch .LBB49_7
.LBB49_13:                              ;   in Loop: Header=BB49_5 Depth=1
	s_or_b32 exec_lo, exec_lo, s19
.LBB49_14:                              ;   in Loop: Header=BB49_5 Depth=1
	s_delay_alu instid0(SALU_CYCLE_1) | instskip(NEXT) | instid1(SALU_CYCLE_1)
	s_or_b32 exec_lo, exec_lo, s13
	s_mov_b32 s1, exec_lo
	v_cmpx_gt_i32_e64 s22, v20
	s_cbranch_execz .LBB49_4
; %bb.15:                               ;   in Loop: Header=BB49_5 Depth=1
	s_and_saveexec_b32 s13, s18
	s_delay_alu instid0(SALU_CYCLE_1)
	s_xor_b32 s13, exec_lo, s13
	s_cbranch_execz .LBB49_20
; %bb.16:                               ;   in Loop: Header=BB49_5 Depth=1
	s_and_b32 vcc_lo, exec_lo, s16
	s_mov_b32 s19, -1
	s_cbranch_vccz .LBB49_18
; %bb.17:                               ;   in Loop: Header=BB49_5 Depth=1
	v_lshl_add_u64 v[24:25], v[20:21], 3, v[14:15]
	v_pk_mul_f32 v[28:29], v[22:23], v[0:1] op_sel:[1,0]
	s_mov_b32 s19, 0
	global_load_b64 v[26:27], v[24:25], off
	v_pk_fma_f32 v[28:29], v[2:3], v[22:23], v[28:29] op_sel_hi:[1,0,1]
	s_wait_loadcnt 0x0
	s_delay_alu instid0(VALU_DEP_1) | instskip(NEXT) | instid1(VALU_DEP_1)
	v_pk_fma_f32 v[28:29], v[4:5], v[26:27], v[28:29] op_sel_hi:[1,0,1]
	v_pk_fma_f32 v[26:27], v[8:9], v[26:27], v[28:29] op_sel:[0,1,0]
	global_store_b64 v[24:25], v[26:27], off
.LBB49_18:                              ;   in Loop: Header=BB49_5 Depth=1
	s_and_not1_b32 vcc_lo, exec_lo, s19
	s_cbranch_vccnz .LBB49_20
; %bb.19:                               ;   in Loop: Header=BB49_5 Depth=1
	v_mul_u64_e32 v[20:21], s[14:15], v[20:21]
	s_wait_xcnt 0x0
	v_pk_mul_f32 v[26:27], v[22:23], v[0:1] op_sel:[1,0]
	s_delay_alu instid0(VALU_DEP_1) | instskip(NEXT) | instid1(VALU_DEP_3)
	v_pk_fma_f32 v[22:23], v[2:3], v[22:23], v[26:27] op_sel_hi:[1,0,1]
	v_lshl_add_u64 v[20:21], v[20:21], 3, v[10:11]
	global_load_b64 v[24:25], v[20:21], off
	s_wait_loadcnt 0x0
	v_pk_fma_f32 v[22:23], v[4:5], v[24:25], v[22:23] op_sel_hi:[1,0,1]
	s_delay_alu instid0(VALU_DEP_1)
	v_pk_fma_f32 v[22:23], v[8:9], v[24:25], v[22:23] op_sel:[0,1,0]
	global_store_b64 v[20:21], v[22:23], off
                                        ; implicit-def: $vgpr22_vgpr23
                                        ; implicit-def: $vgpr20
.LBB49_20:                              ;   in Loop: Header=BB49_5 Depth=1
	s_wait_xcnt 0x0
	s_and_not1_saveexec_b32 s13, s13
	s_cbranch_execz .LBB49_4
; %bb.21:                               ;   in Loop: Header=BB49_5 Depth=1
	v_pk_mul_f32 v[24:25], v[22:23], v[0:1] op_sel:[1,0]
	s_and_b32 vcc_lo, exec_lo, s16
	s_mov_b32 s13, -1
	s_delay_alu instid0(VALU_DEP_1)
	v_pk_fma_f32 v[22:23], v[2:3], v[22:23], v[24:25] op_sel_hi:[1,0,1]
	s_cbranch_vccz .LBB49_23
; %bb.22:                               ;   in Loop: Header=BB49_5 Depth=1
	v_lshl_add_u64 v[24:25], v[20:21], 3, v[14:15]
	s_mov_b32 s13, 0
	global_store_b64 v[24:25], v[22:23], off
.LBB49_23:                              ;   in Loop: Header=BB49_5 Depth=1
	s_and_not1_b32 vcc_lo, exec_lo, s13
	s_cbranch_vccnz .LBB49_4
; %bb.24:                               ;   in Loop: Header=BB49_5 Depth=1
	v_mul_u64_e32 v[20:21], s[14:15], v[20:21]
	s_delay_alu instid0(VALU_DEP_1)
	v_lshl_add_u64 v[20:21], v[20:21], 3, v[10:11]
	global_store_b64 v[20:21], v[22:23], off
	s_branch .LBB49_4
.LBB49_25:
	s_endpgm
	.section	.rodata,"a",@progbits
	.p2align	6, 0x0
	.amdhsa_kernel _ZN9rocsparseL29bsrmmnt_small_blockdim_kernelILj64ELj8ELj2Eli21rocsparse_complex_numIfES2_S2_S2_EEv20rocsparse_direction_T3_S4_llNS_24const_host_device_scalarIT7_EEPKT2_PKS4_PKT4_PKT5_llS7_PT6_ll16rocsparse_order_21rocsparse_index_base_b
		.amdhsa_group_segment_fixed_size 1792
		.amdhsa_private_segment_fixed_size 0
		.amdhsa_kernarg_size 392
		.amdhsa_user_sgpr_count 2
		.amdhsa_user_sgpr_dispatch_ptr 0
		.amdhsa_user_sgpr_queue_ptr 0
		.amdhsa_user_sgpr_kernarg_segment_ptr 1
		.amdhsa_user_sgpr_dispatch_id 0
		.amdhsa_user_sgpr_kernarg_preload_length 0
		.amdhsa_user_sgpr_kernarg_preload_offset 0
		.amdhsa_user_sgpr_private_segment_size 0
		.amdhsa_wavefront_size32 1
		.amdhsa_uses_dynamic_stack 0
		.amdhsa_enable_private_segment 0
		.amdhsa_system_sgpr_workgroup_id_x 1
		.amdhsa_system_sgpr_workgroup_id_y 0
		.amdhsa_system_sgpr_workgroup_id_z 0
		.amdhsa_system_sgpr_workgroup_info 0
		.amdhsa_system_vgpr_workitem_id 0
		.amdhsa_next_free_vgpr 50
		.amdhsa_next_free_sgpr 23
		.amdhsa_named_barrier_count 0
		.amdhsa_reserve_vcc 1
		.amdhsa_float_round_mode_32 0
		.amdhsa_float_round_mode_16_64 0
		.amdhsa_float_denorm_mode_32 3
		.amdhsa_float_denorm_mode_16_64 3
		.amdhsa_fp16_overflow 0
		.amdhsa_memory_ordered 1
		.amdhsa_forward_progress 1
		.amdhsa_inst_pref_size 13
		.amdhsa_round_robin_scheduling 0
		.amdhsa_exception_fp_ieee_invalid_op 0
		.amdhsa_exception_fp_denorm_src 0
		.amdhsa_exception_fp_ieee_div_zero 0
		.amdhsa_exception_fp_ieee_overflow 0
		.amdhsa_exception_fp_ieee_underflow 0
		.amdhsa_exception_fp_ieee_inexact 0
		.amdhsa_exception_int_div_zero 0
	.end_amdhsa_kernel
	.section	.text._ZN9rocsparseL29bsrmmnt_small_blockdim_kernelILj64ELj8ELj2Eli21rocsparse_complex_numIfES2_S2_S2_EEv20rocsparse_direction_T3_S4_llNS_24const_host_device_scalarIT7_EEPKT2_PKS4_PKT4_PKT5_llS7_PT6_ll16rocsparse_order_21rocsparse_index_base_b,"axG",@progbits,_ZN9rocsparseL29bsrmmnt_small_blockdim_kernelILj64ELj8ELj2Eli21rocsparse_complex_numIfES2_S2_S2_EEv20rocsparse_direction_T3_S4_llNS_24const_host_device_scalarIT7_EEPKT2_PKS4_PKT4_PKT5_llS7_PT6_ll16rocsparse_order_21rocsparse_index_base_b,comdat
.Lfunc_end49:
	.size	_ZN9rocsparseL29bsrmmnt_small_blockdim_kernelILj64ELj8ELj2Eli21rocsparse_complex_numIfES2_S2_S2_EEv20rocsparse_direction_T3_S4_llNS_24const_host_device_scalarIT7_EEPKT2_PKS4_PKT4_PKT5_llS7_PT6_ll16rocsparse_order_21rocsparse_index_base_b, .Lfunc_end49-_ZN9rocsparseL29bsrmmnt_small_blockdim_kernelILj64ELj8ELj2Eli21rocsparse_complex_numIfES2_S2_S2_EEv20rocsparse_direction_T3_S4_llNS_24const_host_device_scalarIT7_EEPKT2_PKS4_PKT4_PKT5_llS7_PT6_ll16rocsparse_order_21rocsparse_index_base_b
                                        ; -- End function
	.set _ZN9rocsparseL29bsrmmnt_small_blockdim_kernelILj64ELj8ELj2Eli21rocsparse_complex_numIfES2_S2_S2_EEv20rocsparse_direction_T3_S4_llNS_24const_host_device_scalarIT7_EEPKT2_PKS4_PKT4_PKT5_llS7_PT6_ll16rocsparse_order_21rocsparse_index_base_b.num_vgpr, 50
	.set _ZN9rocsparseL29bsrmmnt_small_blockdim_kernelILj64ELj8ELj2Eli21rocsparse_complex_numIfES2_S2_S2_EEv20rocsparse_direction_T3_S4_llNS_24const_host_device_scalarIT7_EEPKT2_PKS4_PKT4_PKT5_llS7_PT6_ll16rocsparse_order_21rocsparse_index_base_b.num_agpr, 0
	.set _ZN9rocsparseL29bsrmmnt_small_blockdim_kernelILj64ELj8ELj2Eli21rocsparse_complex_numIfES2_S2_S2_EEv20rocsparse_direction_T3_S4_llNS_24const_host_device_scalarIT7_EEPKT2_PKS4_PKT4_PKT5_llS7_PT6_ll16rocsparse_order_21rocsparse_index_base_b.numbered_sgpr, 23
	.set _ZN9rocsparseL29bsrmmnt_small_blockdim_kernelILj64ELj8ELj2Eli21rocsparse_complex_numIfES2_S2_S2_EEv20rocsparse_direction_T3_S4_llNS_24const_host_device_scalarIT7_EEPKT2_PKS4_PKT4_PKT5_llS7_PT6_ll16rocsparse_order_21rocsparse_index_base_b.num_named_barrier, 0
	.set _ZN9rocsparseL29bsrmmnt_small_blockdim_kernelILj64ELj8ELj2Eli21rocsparse_complex_numIfES2_S2_S2_EEv20rocsparse_direction_T3_S4_llNS_24const_host_device_scalarIT7_EEPKT2_PKS4_PKT4_PKT5_llS7_PT6_ll16rocsparse_order_21rocsparse_index_base_b.private_seg_size, 0
	.set _ZN9rocsparseL29bsrmmnt_small_blockdim_kernelILj64ELj8ELj2Eli21rocsparse_complex_numIfES2_S2_S2_EEv20rocsparse_direction_T3_S4_llNS_24const_host_device_scalarIT7_EEPKT2_PKS4_PKT4_PKT5_llS7_PT6_ll16rocsparse_order_21rocsparse_index_base_b.uses_vcc, 1
	.set _ZN9rocsparseL29bsrmmnt_small_blockdim_kernelILj64ELj8ELj2Eli21rocsparse_complex_numIfES2_S2_S2_EEv20rocsparse_direction_T3_S4_llNS_24const_host_device_scalarIT7_EEPKT2_PKS4_PKT4_PKT5_llS7_PT6_ll16rocsparse_order_21rocsparse_index_base_b.uses_flat_scratch, 1
	.set _ZN9rocsparseL29bsrmmnt_small_blockdim_kernelILj64ELj8ELj2Eli21rocsparse_complex_numIfES2_S2_S2_EEv20rocsparse_direction_T3_S4_llNS_24const_host_device_scalarIT7_EEPKT2_PKS4_PKT4_PKT5_llS7_PT6_ll16rocsparse_order_21rocsparse_index_base_b.has_dyn_sized_stack, 0
	.set _ZN9rocsparseL29bsrmmnt_small_blockdim_kernelILj64ELj8ELj2Eli21rocsparse_complex_numIfES2_S2_S2_EEv20rocsparse_direction_T3_S4_llNS_24const_host_device_scalarIT7_EEPKT2_PKS4_PKT4_PKT5_llS7_PT6_ll16rocsparse_order_21rocsparse_index_base_b.has_recursion, 0
	.set _ZN9rocsparseL29bsrmmnt_small_blockdim_kernelILj64ELj8ELj2Eli21rocsparse_complex_numIfES2_S2_S2_EEv20rocsparse_direction_T3_S4_llNS_24const_host_device_scalarIT7_EEPKT2_PKS4_PKT4_PKT5_llS7_PT6_ll16rocsparse_order_21rocsparse_index_base_b.has_indirect_call, 0
	.section	.AMDGPU.csdata,"",@progbits
; Kernel info:
; codeLenInByte = 1580
; TotalNumSgprs: 25
; NumVgprs: 50
; ScratchSize: 0
; MemoryBound: 0
; FloatMode: 240
; IeeeMode: 1
; LDSByteSize: 1792 bytes/workgroup (compile time only)
; SGPRBlocks: 0
; VGPRBlocks: 3
; NumSGPRsForWavesPerEU: 25
; NumVGPRsForWavesPerEU: 50
; NamedBarCnt: 0
; Occupancy: 16
; WaveLimiterHint : 0
; COMPUTE_PGM_RSRC2:SCRATCH_EN: 0
; COMPUTE_PGM_RSRC2:USER_SGPR: 2
; COMPUTE_PGM_RSRC2:TRAP_HANDLER: 0
; COMPUTE_PGM_RSRC2:TGID_X_EN: 1
; COMPUTE_PGM_RSRC2:TGID_Y_EN: 0
; COMPUTE_PGM_RSRC2:TGID_Z_EN: 0
; COMPUTE_PGM_RSRC2:TIDIG_COMP_CNT: 0
	.section	.text._ZN9rocsparseL29bsrmmnt_small_blockdim_kernelILj64ELj16ELj2Eli21rocsparse_complex_numIfES2_S2_S2_EEv20rocsparse_direction_T3_S4_llNS_24const_host_device_scalarIT7_EEPKT2_PKS4_PKT4_PKT5_llS7_PT6_ll16rocsparse_order_21rocsparse_index_base_b,"axG",@progbits,_ZN9rocsparseL29bsrmmnt_small_blockdim_kernelILj64ELj16ELj2Eli21rocsparse_complex_numIfES2_S2_S2_EEv20rocsparse_direction_T3_S4_llNS_24const_host_device_scalarIT7_EEPKT2_PKS4_PKT4_PKT5_llS7_PT6_ll16rocsparse_order_21rocsparse_index_base_b,comdat
	.globl	_ZN9rocsparseL29bsrmmnt_small_blockdim_kernelILj64ELj16ELj2Eli21rocsparse_complex_numIfES2_S2_S2_EEv20rocsparse_direction_T3_S4_llNS_24const_host_device_scalarIT7_EEPKT2_PKS4_PKT4_PKT5_llS7_PT6_ll16rocsparse_order_21rocsparse_index_base_b ; -- Begin function _ZN9rocsparseL29bsrmmnt_small_blockdim_kernelILj64ELj16ELj2Eli21rocsparse_complex_numIfES2_S2_S2_EEv20rocsparse_direction_T3_S4_llNS_24const_host_device_scalarIT7_EEPKT2_PKS4_PKT4_PKT5_llS7_PT6_ll16rocsparse_order_21rocsparse_index_base_b
	.p2align	8
	.type	_ZN9rocsparseL29bsrmmnt_small_blockdim_kernelILj64ELj16ELj2Eli21rocsparse_complex_numIfES2_S2_S2_EEv20rocsparse_direction_T3_S4_llNS_24const_host_device_scalarIT7_EEPKT2_PKS4_PKT4_PKT5_llS7_PT6_ll16rocsparse_order_21rocsparse_index_base_b,@function
_ZN9rocsparseL29bsrmmnt_small_blockdim_kernelILj64ELj16ELj2Eli21rocsparse_complex_numIfES2_S2_S2_EEv20rocsparse_direction_T3_S4_llNS_24const_host_device_scalarIT7_EEPKT2_PKS4_PKT4_PKT5_llS7_PT6_ll16rocsparse_order_21rocsparse_index_base_b: ; @_ZN9rocsparseL29bsrmmnt_small_blockdim_kernelILj64ELj16ELj2Eli21rocsparse_complex_numIfES2_S2_S2_EEv20rocsparse_direction_T3_S4_llNS_24const_host_device_scalarIT7_EEPKT2_PKS4_PKT4_PKT5_llS7_PT6_ll16rocsparse_order_21rocsparse_index_base_b
; %bb.0:
	s_clause 0x2
	s_load_b96 s[16:18], s[0:1], 0x78
	s_load_b64 s[2:3], s[0:1], 0x20
	s_load_b64 s[4:5], s[0:1], 0x58
	v_mov_b32_e32 v1, 0
	s_add_nc_u64 s[6:7], s[0:1], 32
	s_add_nc_u64 s[8:9], s[0:1], 0x58
	s_wait_kmcnt 0x0
	s_bitcmp1_b32 s18, 0
	s_cselect_b32 s3, s7, s3
	s_cselect_b32 s2, s6, s2
	;; [unrolled: 1-line block ×4, first 2 shown]
	s_clause 0x1
	flat_load_b64 v[2:3], v1, s[2:3]
	flat_load_b64 v[4:5], v1, s[4:5]
	s_wait_loadcnt_dscnt 0x101
	s_wait_xcnt 0x1
	v_cmp_eq_f32_e64 s2, 0, v2
	v_cmp_eq_f32_e64 s3, 0, v3
	s_wait_loadcnt_dscnt 0x0
	v_cmp_eq_f32_e64 s4, 1.0, v4
	v_cmp_eq_f32_e32 vcc_lo, 0, v5
	s_and_b32 s2, s2, s3
	s_and_b32 s3, s4, vcc_lo
	s_delay_alu instid0(SALU_CYCLE_1) | instskip(NEXT) | instid1(SALU_CYCLE_1)
	s_and_b32 s2, s2, s3
	s_xor_b32 s2, s2, -1
	s_delay_alu instid0(SALU_CYCLE_1)
	s_and_saveexec_b32 s3, s2
	s_cbranch_execz .LBB50_25
; %bb.1:
	s_clause 0x1
	s_load_b32 s2, s[0:1], 0x94
	s_load_b96 s[20:22], s[0:1], 0x0
	s_bfe_u32 s3, ttmp6, 0x4000c
	s_and_b32 s4, ttmp6, 15
	s_add_co_i32 s3, s3, 1
	s_getreg_b32 s5, hwreg(HW_REG_IB_STS2, 6, 4)
	s_mul_i32 s3, ttmp9, s3
	s_delay_alu instid0(SALU_CYCLE_1) | instskip(SKIP_4) | instid1(SALU_CYCLE_1)
	s_add_co_i32 s4, s4, s3
	s_wait_kmcnt 0x0
	s_and_b32 s2, s2, 0xffff
	s_cmp_eq_u32 s5, 0
	s_cselect_b32 s3, ttmp9, s4
	v_mad_u32 v6, s3, s2, v0
	s_delay_alu instid0(VALU_DEP_1) | instskip(NEXT) | instid1(VALU_DEP_1)
	v_lshrrev_b32_e32 v1, 5, v6
	v_cmp_gt_i32_e64 s2, s21, v1
	s_and_b32 exec_lo, exec_lo, s2
	s_cbranch_execz .LBB50_25
; %bb.2:
	s_cmp_lt_i32 s22, 1
	s_cbranch_scc1 .LBB50_25
; %bb.3:
	s_load_b256 s[4:11], s[0:1], 0x28
	v_dual_lshlrev_b32 v1, 3, v1 :: v_dual_lshrrev_b32 v10, 4, v6
	s_clause 0x1
	s_load_b128 s[12:15], s[0:1], 0x60
	s_load_b64 s[2:3], s[0:1], 0x48
	s_wait_xcnt 0x0
	v_cmp_neq_f32_e64 s0, 0, v4
	s_xor_b32 s1, vcc_lo, -1
	v_bfe_u32 v7, v6, 4, 1
	v_xor_b32_e32 v6, 0x80000000, v3
	v_xor_b32_e32 v8, 0x80000000, v5
	s_or_b32 s18, s0, s1
	s_cmp_lg_u32 s16, 1
	v_lshrrev_b32_e32 v9, 4, v0
	s_cselect_b32 s16, -1, 0
	s_cmp_eq_u32 s20, 0
	v_and_b32_e32 v0, 15, v0
	s_cselect_b32 s0, -1, 0
	v_lshl_or_b32 v34, v9, 6, 0x600
	v_mul_u32_u24_e32 v35, 0x180, v9
	s_wait_kmcnt 0x0
	global_load_b128 v[20:23], v1, s[4:5]
	s_wait_xcnt 0x0
	v_mov_b32_e32 v1, 0
	s_mov_b32 s5, 0
	s_mov_b32 s4, s17
	v_mul_u32_u24_e32 v24, 24, v0
	v_lshl_or_b32 v36, v0, 2, v34
	v_dual_mov_b32 v11, v1 :: v_dual_mov_b32 v9, v4
	s_delay_alu instid0(VALU_DEP_3) | instskip(NEXT) | instid1(VALU_DEP_2)
	v_dual_mov_b32 v13, v1 :: v_dual_add_nc_u32 v37, v35, v24
	v_mul_u64_e32 v[14:15], s[14:15], v[10:11]
	v_cndmask_b32_e64 v11, 0, 1, s0
	v_lshlrev_b32_e32 v10, 3, v10
	s_and_b32 s0, s0, exec_lo
	s_delay_alu instid0(VALU_DEP_2) | instskip(NEXT) | instid1(VALU_DEP_1)
	v_dual_lshlrev_b32 v7, v11, v7 :: v_dual_mov_b32 v11, v1
	v_dual_mov_b32 v7, v2 :: v_dual_lshlrev_b32 v12, 3, v7
	s_delay_alu instid0(VALU_DEP_2) | instskip(NEXT) | instid1(VALU_DEP_2)
	v_add_nc_u64_e32 v[10:11], s[12:13], v[10:11]
	v_add_nc_u64_e32 v[12:13], s[8:9], v[12:13]
	s_cselect_b32 s8, 12, 20
	s_mov_b32 s9, s5
	v_lshl_add_u64 v[14:15], v[14:15], 3, s[12:13]
	s_mov_b32 s12, s5
	s_wait_loadcnt 0x0
	v_sub_nc_u64_e64 v[16:17], v[20:21], s[4:5]
	v_sub_nc_u64_e64 v[18:19], v[22:23], s[4:5]
	v_cmp_lt_i64_e64 s0, v[20:21], v[22:23]
	s_cselect_b32 s4, 8, 16
	s_branch .LBB50_5
.LBB50_4:                               ;   in Loop: Header=BB50_5 Depth=1
	s_wait_xcnt 0x0
	s_or_b32 exec_lo, exec_lo, s1
	s_add_co_i32 s12, s12, 16
	s_delay_alu instid0(SALU_CYCLE_1)
	s_cmp_lt_i32 s12, s22
	s_cbranch_scc0 .LBB50_25
.LBB50_5:                               ; =>This Loop Header: Depth=1
                                        ;     Child Loop BB50_8 Depth 2
                                        ;       Child Loop BB50_12 Depth 3
	v_or_b32_e32 v20, s12, v0
	v_mov_b64_e32 v[22:23], 0
	s_delay_alu instid0(VALU_DEP_2)
	v_ashrrev_i32_e32 v21, 31, v20
	s_and_saveexec_b32 s13, s0
	s_cbranch_execz .LBB50_14
; %bb.6:                                ;   in Loop: Header=BB50_5 Depth=1
	v_mov_b64_e32 v[22:23], 0
	v_mov_b64_e32 v[26:27], v[16:17]
	v_lshl_add_u64 v[24:25], v[20:21], 3, s[10:11]
	s_mov_b32 s19, 0
	v_cmp_gt_i32_e32 vcc_lo, s22, v20
	s_branch .LBB50_8
.LBB50_7:                               ;   in Loop: Header=BB50_8 Depth=2
	s_or_b32 exec_lo, exec_lo, s1
	v_add_nc_u64_e32 v[26:27], 16, v[26:27]
	s_delay_alu instid0(VALU_DEP_1) | instskip(SKIP_1) | instid1(SALU_CYCLE_1)
	v_cmp_ge_i64_e64 s1, v[26:27], v[18:19]
	s_or_b32 s19, s1, s19
	s_and_not1_b32 exec_lo, exec_lo, s19
	s_cbranch_execz .LBB50_13
.LBB50_8:                               ;   Parent Loop BB50_5 Depth=1
                                        ; =>  This Loop Header: Depth=2
                                        ;       Child Loop BB50_12 Depth 3
	s_delay_alu instid0(VALU_DEP_3) | instskip(SKIP_4) | instid1(VALU_DEP_4)
	v_add_nc_u64_e32 v[32:33], v[26:27], v[0:1]
	v_dual_mov_b32 v38, 0 :: v_dual_mov_b32 v28, 0
	v_dual_mov_b32 v29, 0 :: v_dual_mov_b32 v30, 0
	v_mov_b32_e32 v31, 0
	s_mov_b32 s20, exec_lo
	v_cmpx_lt_i64_e64 v[32:33], v[18:19]
	s_cbranch_execz .LBB50_10
; %bb.9:                                ;   in Loop: Header=BB50_8 Depth=2
	v_lshlrev_b64_e32 v[28:29], 5, v[32:33]
	v_lshl_add_u64 v[30:31], v[32:33], 2, s[6:7]
	global_load_b32 v42, v[30:31], off
	v_add_nc_u64_e32 v[32:33], v[12:13], v[28:29]
	s_delay_alu instid0(VALU_DEP_1)
	v_add_nc_u64_e32 v[38:39], s[4:5], v[32:33]
	v_add_nc_u64_e32 v[40:41], s[8:9], v[32:33]
	s_clause 0x2
	global_load_b64 v[28:29], v[32:33], off
	global_load_b32 v30, v[38:39], off
	global_load_b32 v31, v[40:41], off
	s_wait_loadcnt 0x3
	s_wait_xcnt 0x2
	v_subrev_nc_u32_e32 v32, s17, v42
	s_wait_xcnt 0x1
	s_delay_alu instid0(VALU_DEP_1)
	v_lshlrev_b32_e32 v38, 1, v32
.LBB50_10:                              ;   in Loop: Header=BB50_8 Depth=2
	s_wait_xcnt 0x0
	s_or_b32 exec_lo, exec_lo, s20
	ds_store_b32 v36, v38
	s_wait_loadcnt 0x0
	ds_store_2addr_b64 v37, v[28:29], v[30:31] offset1:1
	s_wait_dscnt 0x0
	s_barrier_signal -1
	s_barrier_wait -1
	s_and_saveexec_b32 s1, vcc_lo
	s_cbranch_execz .LBB50_7
; %bb.11:                               ;   in Loop: Header=BB50_8 Depth=2
	v_mov_b32_e32 v28, v35
	s_mov_b32 s20, 0
.LBB50_12:                              ;   Parent Loop BB50_5 Depth=1
                                        ;     Parent Loop BB50_8 Depth=2
                                        ; =>    This Inner Loop Header: Depth=3
	s_delay_alu instid0(SALU_CYCLE_1) | instskip(SKIP_1) | instid1(SALU_CYCLE_1)
	v_add_nc_u32_e32 v29, s20, v34
	s_add_co_i32 s20, s20, 8
	s_cmp_lg_u32 s20, 64
	ds_load_b64 v[30:31], v29
	s_wait_dscnt 0x0
	v_dual_ashrrev_i32 v33, 31, v30 :: v_dual_add_nc_u32 v38, 1, v30
	v_dual_mov_b32 v32, v30 :: v_dual_mov_b32 v40, v31
	v_dual_add_nc_u32 v30, 1, v31 :: v_dual_ashrrev_i32 v41, 31, v31
	s_delay_alu instid0(VALU_DEP_3) | instskip(NEXT) | instid1(VALU_DEP_3)
	v_ashrrev_i32_e32 v39, 31, v38
	v_mul_u64_e32 v[32:33], s[2:3], v[32:33]
	s_delay_alu instid0(VALU_DEP_3) | instskip(NEXT) | instid1(VALU_DEP_4)
	v_ashrrev_i32_e32 v31, 31, v30
	v_mul_u64_e32 v[40:41], s[2:3], v[40:41]
	s_delay_alu instid0(VALU_DEP_4) | instskip(NEXT) | instid1(VALU_DEP_3)
	v_mul_u64_e32 v[38:39], s[2:3], v[38:39]
	v_mul_u64_e32 v[30:31], s[2:3], v[30:31]
	v_lshl_add_u64 v[32:33], v[32:33], 3, v[24:25]
	global_load_b64 v[42:43], v[32:33], off
	v_lshl_add_u64 v[30:31], v[30:31], 3, v[24:25]
	global_load_b64 v[48:49], v[30:31], off
	s_wait_xcnt 0x1
	v_lshl_add_u64 v[32:33], v[38:39], 3, v[24:25]
	global_load_b64 v[44:45], v[32:33], off
	s_wait_xcnt 0x0
	;; [unrolled: 3-line block ×3, first 2 shown]
	ds_load_b128 v[30:33], v28
	ds_load_2addr_b64 v[38:41], v28 offset0:3 offset1:4
	v_add_nc_u32_e32 v28, 48, v28
	s_wait_loadcnt_dscnt 0x301
	v_pk_fma_f32 v[22:23], v[30:31], v[42:43], v[22:23] op_sel_hi:[1,0,1]
	s_delay_alu instid0(VALU_DEP_1) | instskip(SKIP_3) | instid1(VALU_DEP_3)
	v_pk_fma_f32 v[22:23], v[30:31], v[42:43], v[22:23] op_sel:[1,1,0] op_sel_hi:[0,1,1] neg_lo:[1,0,0]
	v_xor_b32_e32 v30, 0x80000000, v33
	v_mov_b32_e32 v31, v32
	s_wait_loadcnt 0x1
	v_pk_fma_f32 v[22:23], v[32:33], v[44:45], v[22:23] op_sel_hi:[1,0,1]
	s_delay_alu instid0(VALU_DEP_1)
	v_pk_fma_f32 v[22:23], v[30:31], v[44:45], v[22:23] op_sel:[0,1,0]
	s_wait_dscnt 0x0
	v_xor_b32_e32 v30, 0x80000000, v41
	v_mov_b32_e32 v31, v40
	s_wait_loadcnt 0x0
	v_pk_fma_f32 v[22:23], v[38:39], v[46:47], v[22:23] op_sel_hi:[1,0,1]
	s_delay_alu instid0(VALU_DEP_1) | instskip(NEXT) | instid1(VALU_DEP_1)
	v_pk_fma_f32 v[22:23], v[38:39], v[46:47], v[22:23] op_sel:[1,1,0] op_sel_hi:[0,1,1] neg_lo:[1,0,0]
	v_pk_fma_f32 v[22:23], v[40:41], v[48:49], v[22:23] op_sel_hi:[1,0,1]
	s_delay_alu instid0(VALU_DEP_1)
	v_pk_fma_f32 v[22:23], v[30:31], v[48:49], v[22:23] op_sel:[0,1,0]
	s_cbranch_scc1 .LBB50_12
	s_branch .LBB50_7
.LBB50_13:                              ;   in Loop: Header=BB50_5 Depth=1
	s_or_b32 exec_lo, exec_lo, s19
.LBB50_14:                              ;   in Loop: Header=BB50_5 Depth=1
	s_delay_alu instid0(SALU_CYCLE_1) | instskip(NEXT) | instid1(SALU_CYCLE_1)
	s_or_b32 exec_lo, exec_lo, s13
	s_mov_b32 s1, exec_lo
	v_cmpx_gt_i32_e64 s22, v20
	s_cbranch_execz .LBB50_4
; %bb.15:                               ;   in Loop: Header=BB50_5 Depth=1
	s_and_saveexec_b32 s13, s18
	s_delay_alu instid0(SALU_CYCLE_1)
	s_xor_b32 s13, exec_lo, s13
	s_cbranch_execz .LBB50_20
; %bb.16:                               ;   in Loop: Header=BB50_5 Depth=1
	s_and_b32 vcc_lo, exec_lo, s16
	s_mov_b32 s19, -1
	s_cbranch_vccz .LBB50_18
; %bb.17:                               ;   in Loop: Header=BB50_5 Depth=1
	v_lshl_add_u64 v[24:25], v[20:21], 3, v[14:15]
	v_pk_mul_f32 v[28:29], v[22:23], v[6:7] op_sel:[1,0]
	s_mov_b32 s19, 0
	global_load_b64 v[26:27], v[24:25], off
	v_pk_fma_f32 v[28:29], v[2:3], v[22:23], v[28:29] op_sel_hi:[1,0,1]
	s_wait_loadcnt 0x0
	s_delay_alu instid0(VALU_DEP_1) | instskip(NEXT) | instid1(VALU_DEP_1)
	v_pk_fma_f32 v[28:29], v[4:5], v[26:27], v[28:29] op_sel_hi:[1,0,1]
	v_pk_fma_f32 v[26:27], v[8:9], v[26:27], v[28:29] op_sel:[0,1,0]
	global_store_b64 v[24:25], v[26:27], off
.LBB50_18:                              ;   in Loop: Header=BB50_5 Depth=1
	s_and_not1_b32 vcc_lo, exec_lo, s19
	s_cbranch_vccnz .LBB50_20
; %bb.19:                               ;   in Loop: Header=BB50_5 Depth=1
	v_mul_u64_e32 v[20:21], s[14:15], v[20:21]
	s_wait_xcnt 0x0
	v_pk_mul_f32 v[26:27], v[22:23], v[6:7] op_sel:[1,0]
	s_delay_alu instid0(VALU_DEP_1) | instskip(NEXT) | instid1(VALU_DEP_3)
	v_pk_fma_f32 v[22:23], v[2:3], v[22:23], v[26:27] op_sel_hi:[1,0,1]
	v_lshl_add_u64 v[20:21], v[20:21], 3, v[10:11]
	global_load_b64 v[24:25], v[20:21], off
	s_wait_loadcnt 0x0
	v_pk_fma_f32 v[22:23], v[4:5], v[24:25], v[22:23] op_sel_hi:[1,0,1]
	s_delay_alu instid0(VALU_DEP_1)
	v_pk_fma_f32 v[22:23], v[8:9], v[24:25], v[22:23] op_sel:[0,1,0]
	global_store_b64 v[20:21], v[22:23], off
                                        ; implicit-def: $vgpr22_vgpr23
                                        ; implicit-def: $vgpr20
.LBB50_20:                              ;   in Loop: Header=BB50_5 Depth=1
	s_wait_xcnt 0x0
	s_and_not1_saveexec_b32 s13, s13
	s_cbranch_execz .LBB50_4
; %bb.21:                               ;   in Loop: Header=BB50_5 Depth=1
	v_pk_mul_f32 v[24:25], v[22:23], v[6:7] op_sel:[1,0]
	s_and_b32 vcc_lo, exec_lo, s16
	s_mov_b32 s13, -1
	s_delay_alu instid0(VALU_DEP_1)
	v_pk_fma_f32 v[22:23], v[2:3], v[22:23], v[24:25] op_sel_hi:[1,0,1]
	s_cbranch_vccz .LBB50_23
; %bb.22:                               ;   in Loop: Header=BB50_5 Depth=1
	v_lshl_add_u64 v[24:25], v[20:21], 3, v[14:15]
	s_mov_b32 s13, 0
	global_store_b64 v[24:25], v[22:23], off
.LBB50_23:                              ;   in Loop: Header=BB50_5 Depth=1
	s_and_not1_b32 vcc_lo, exec_lo, s13
	s_cbranch_vccnz .LBB50_4
; %bb.24:                               ;   in Loop: Header=BB50_5 Depth=1
	v_mul_u64_e32 v[20:21], s[14:15], v[20:21]
	s_delay_alu instid0(VALU_DEP_1)
	v_lshl_add_u64 v[20:21], v[20:21], 3, v[10:11]
	global_store_b64 v[20:21], v[22:23], off
	s_branch .LBB50_4
.LBB50_25:
	s_endpgm
	.section	.rodata,"a",@progbits
	.p2align	6, 0x0
	.amdhsa_kernel _ZN9rocsparseL29bsrmmnt_small_blockdim_kernelILj64ELj16ELj2Eli21rocsparse_complex_numIfES2_S2_S2_EEv20rocsparse_direction_T3_S4_llNS_24const_host_device_scalarIT7_EEPKT2_PKS4_PKT4_PKT5_llS7_PT6_ll16rocsparse_order_21rocsparse_index_base_b
		.amdhsa_group_segment_fixed_size 1792
		.amdhsa_private_segment_fixed_size 0
		.amdhsa_kernarg_size 392
		.amdhsa_user_sgpr_count 2
		.amdhsa_user_sgpr_dispatch_ptr 0
		.amdhsa_user_sgpr_queue_ptr 0
		.amdhsa_user_sgpr_kernarg_segment_ptr 1
		.amdhsa_user_sgpr_dispatch_id 0
		.amdhsa_user_sgpr_kernarg_preload_length 0
		.amdhsa_user_sgpr_kernarg_preload_offset 0
		.amdhsa_user_sgpr_private_segment_size 0
		.amdhsa_wavefront_size32 1
		.amdhsa_uses_dynamic_stack 0
		.amdhsa_enable_private_segment 0
		.amdhsa_system_sgpr_workgroup_id_x 1
		.amdhsa_system_sgpr_workgroup_id_y 0
		.amdhsa_system_sgpr_workgroup_id_z 0
		.amdhsa_system_sgpr_workgroup_info 0
		.amdhsa_system_vgpr_workitem_id 0
		.amdhsa_next_free_vgpr 50
		.amdhsa_next_free_sgpr 23
		.amdhsa_named_barrier_count 0
		.amdhsa_reserve_vcc 1
		.amdhsa_float_round_mode_32 0
		.amdhsa_float_round_mode_16_64 0
		.amdhsa_float_denorm_mode_32 3
		.amdhsa_float_denorm_mode_16_64 3
		.amdhsa_fp16_overflow 0
		.amdhsa_memory_ordered 1
		.amdhsa_forward_progress 1
		.amdhsa_inst_pref_size 13
		.amdhsa_round_robin_scheduling 0
		.amdhsa_exception_fp_ieee_invalid_op 0
		.amdhsa_exception_fp_denorm_src 0
		.amdhsa_exception_fp_ieee_div_zero 0
		.amdhsa_exception_fp_ieee_overflow 0
		.amdhsa_exception_fp_ieee_underflow 0
		.amdhsa_exception_fp_ieee_inexact 0
		.amdhsa_exception_int_div_zero 0
	.end_amdhsa_kernel
	.section	.text._ZN9rocsparseL29bsrmmnt_small_blockdim_kernelILj64ELj16ELj2Eli21rocsparse_complex_numIfES2_S2_S2_EEv20rocsparse_direction_T3_S4_llNS_24const_host_device_scalarIT7_EEPKT2_PKS4_PKT4_PKT5_llS7_PT6_ll16rocsparse_order_21rocsparse_index_base_b,"axG",@progbits,_ZN9rocsparseL29bsrmmnt_small_blockdim_kernelILj64ELj16ELj2Eli21rocsparse_complex_numIfES2_S2_S2_EEv20rocsparse_direction_T3_S4_llNS_24const_host_device_scalarIT7_EEPKT2_PKS4_PKT4_PKT5_llS7_PT6_ll16rocsparse_order_21rocsparse_index_base_b,comdat
.Lfunc_end50:
	.size	_ZN9rocsparseL29bsrmmnt_small_blockdim_kernelILj64ELj16ELj2Eli21rocsparse_complex_numIfES2_S2_S2_EEv20rocsparse_direction_T3_S4_llNS_24const_host_device_scalarIT7_EEPKT2_PKS4_PKT4_PKT5_llS7_PT6_ll16rocsparse_order_21rocsparse_index_base_b, .Lfunc_end50-_ZN9rocsparseL29bsrmmnt_small_blockdim_kernelILj64ELj16ELj2Eli21rocsparse_complex_numIfES2_S2_S2_EEv20rocsparse_direction_T3_S4_llNS_24const_host_device_scalarIT7_EEPKT2_PKS4_PKT4_PKT5_llS7_PT6_ll16rocsparse_order_21rocsparse_index_base_b
                                        ; -- End function
	.set _ZN9rocsparseL29bsrmmnt_small_blockdim_kernelILj64ELj16ELj2Eli21rocsparse_complex_numIfES2_S2_S2_EEv20rocsparse_direction_T3_S4_llNS_24const_host_device_scalarIT7_EEPKT2_PKS4_PKT4_PKT5_llS7_PT6_ll16rocsparse_order_21rocsparse_index_base_b.num_vgpr, 50
	.set _ZN9rocsparseL29bsrmmnt_small_blockdim_kernelILj64ELj16ELj2Eli21rocsparse_complex_numIfES2_S2_S2_EEv20rocsparse_direction_T3_S4_llNS_24const_host_device_scalarIT7_EEPKT2_PKS4_PKT4_PKT5_llS7_PT6_ll16rocsparse_order_21rocsparse_index_base_b.num_agpr, 0
	.set _ZN9rocsparseL29bsrmmnt_small_blockdim_kernelILj64ELj16ELj2Eli21rocsparse_complex_numIfES2_S2_S2_EEv20rocsparse_direction_T3_S4_llNS_24const_host_device_scalarIT7_EEPKT2_PKS4_PKT4_PKT5_llS7_PT6_ll16rocsparse_order_21rocsparse_index_base_b.numbered_sgpr, 23
	.set _ZN9rocsparseL29bsrmmnt_small_blockdim_kernelILj64ELj16ELj2Eli21rocsparse_complex_numIfES2_S2_S2_EEv20rocsparse_direction_T3_S4_llNS_24const_host_device_scalarIT7_EEPKT2_PKS4_PKT4_PKT5_llS7_PT6_ll16rocsparse_order_21rocsparse_index_base_b.num_named_barrier, 0
	.set _ZN9rocsparseL29bsrmmnt_small_blockdim_kernelILj64ELj16ELj2Eli21rocsparse_complex_numIfES2_S2_S2_EEv20rocsparse_direction_T3_S4_llNS_24const_host_device_scalarIT7_EEPKT2_PKS4_PKT4_PKT5_llS7_PT6_ll16rocsparse_order_21rocsparse_index_base_b.private_seg_size, 0
	.set _ZN9rocsparseL29bsrmmnt_small_blockdim_kernelILj64ELj16ELj2Eli21rocsparse_complex_numIfES2_S2_S2_EEv20rocsparse_direction_T3_S4_llNS_24const_host_device_scalarIT7_EEPKT2_PKS4_PKT4_PKT5_llS7_PT6_ll16rocsparse_order_21rocsparse_index_base_b.uses_vcc, 1
	.set _ZN9rocsparseL29bsrmmnt_small_blockdim_kernelILj64ELj16ELj2Eli21rocsparse_complex_numIfES2_S2_S2_EEv20rocsparse_direction_T3_S4_llNS_24const_host_device_scalarIT7_EEPKT2_PKS4_PKT4_PKT5_llS7_PT6_ll16rocsparse_order_21rocsparse_index_base_b.uses_flat_scratch, 1
	.set _ZN9rocsparseL29bsrmmnt_small_blockdim_kernelILj64ELj16ELj2Eli21rocsparse_complex_numIfES2_S2_S2_EEv20rocsparse_direction_T3_S4_llNS_24const_host_device_scalarIT7_EEPKT2_PKS4_PKT4_PKT5_llS7_PT6_ll16rocsparse_order_21rocsparse_index_base_b.has_dyn_sized_stack, 0
	.set _ZN9rocsparseL29bsrmmnt_small_blockdim_kernelILj64ELj16ELj2Eli21rocsparse_complex_numIfES2_S2_S2_EEv20rocsparse_direction_T3_S4_llNS_24const_host_device_scalarIT7_EEPKT2_PKS4_PKT4_PKT5_llS7_PT6_ll16rocsparse_order_21rocsparse_index_base_b.has_recursion, 0
	.set _ZN9rocsparseL29bsrmmnt_small_blockdim_kernelILj64ELj16ELj2Eli21rocsparse_complex_numIfES2_S2_S2_EEv20rocsparse_direction_T3_S4_llNS_24const_host_device_scalarIT7_EEPKT2_PKS4_PKT4_PKT5_llS7_PT6_ll16rocsparse_order_21rocsparse_index_base_b.has_indirect_call, 0
	.section	.AMDGPU.csdata,"",@progbits
; Kernel info:
; codeLenInByte = 1584
; TotalNumSgprs: 25
; NumVgprs: 50
; ScratchSize: 0
; MemoryBound: 0
; FloatMode: 240
; IeeeMode: 1
; LDSByteSize: 1792 bytes/workgroup (compile time only)
; SGPRBlocks: 0
; VGPRBlocks: 3
; NumSGPRsForWavesPerEU: 25
; NumVGPRsForWavesPerEU: 50
; NamedBarCnt: 0
; Occupancy: 16
; WaveLimiterHint : 0
; COMPUTE_PGM_RSRC2:SCRATCH_EN: 0
; COMPUTE_PGM_RSRC2:USER_SGPR: 2
; COMPUTE_PGM_RSRC2:TRAP_HANDLER: 0
; COMPUTE_PGM_RSRC2:TGID_X_EN: 1
; COMPUTE_PGM_RSRC2:TGID_Y_EN: 0
; COMPUTE_PGM_RSRC2:TGID_Z_EN: 0
; COMPUTE_PGM_RSRC2:TIDIG_COMP_CNT: 0
	.section	.text._ZN9rocsparseL29bsrmmnt_small_blockdim_kernelILj64ELj32ELj2Eli21rocsparse_complex_numIfES2_S2_S2_EEv20rocsparse_direction_T3_S4_llNS_24const_host_device_scalarIT7_EEPKT2_PKS4_PKT4_PKT5_llS7_PT6_ll16rocsparse_order_21rocsparse_index_base_b,"axG",@progbits,_ZN9rocsparseL29bsrmmnt_small_blockdim_kernelILj64ELj32ELj2Eli21rocsparse_complex_numIfES2_S2_S2_EEv20rocsparse_direction_T3_S4_llNS_24const_host_device_scalarIT7_EEPKT2_PKS4_PKT4_PKT5_llS7_PT6_ll16rocsparse_order_21rocsparse_index_base_b,comdat
	.globl	_ZN9rocsparseL29bsrmmnt_small_blockdim_kernelILj64ELj32ELj2Eli21rocsparse_complex_numIfES2_S2_S2_EEv20rocsparse_direction_T3_S4_llNS_24const_host_device_scalarIT7_EEPKT2_PKS4_PKT4_PKT5_llS7_PT6_ll16rocsparse_order_21rocsparse_index_base_b ; -- Begin function _ZN9rocsparseL29bsrmmnt_small_blockdim_kernelILj64ELj32ELj2Eli21rocsparse_complex_numIfES2_S2_S2_EEv20rocsparse_direction_T3_S4_llNS_24const_host_device_scalarIT7_EEPKT2_PKS4_PKT4_PKT5_llS7_PT6_ll16rocsparse_order_21rocsparse_index_base_b
	.p2align	8
	.type	_ZN9rocsparseL29bsrmmnt_small_blockdim_kernelILj64ELj32ELj2Eli21rocsparse_complex_numIfES2_S2_S2_EEv20rocsparse_direction_T3_S4_llNS_24const_host_device_scalarIT7_EEPKT2_PKS4_PKT4_PKT5_llS7_PT6_ll16rocsparse_order_21rocsparse_index_base_b,@function
_ZN9rocsparseL29bsrmmnt_small_blockdim_kernelILj64ELj32ELj2Eli21rocsparse_complex_numIfES2_S2_S2_EEv20rocsparse_direction_T3_S4_llNS_24const_host_device_scalarIT7_EEPKT2_PKS4_PKT4_PKT5_llS7_PT6_ll16rocsparse_order_21rocsparse_index_base_b: ; @_ZN9rocsparseL29bsrmmnt_small_blockdim_kernelILj64ELj32ELj2Eli21rocsparse_complex_numIfES2_S2_S2_EEv20rocsparse_direction_T3_S4_llNS_24const_host_device_scalarIT7_EEPKT2_PKS4_PKT4_PKT5_llS7_PT6_ll16rocsparse_order_21rocsparse_index_base_b
; %bb.0:
	s_clause 0x2
	s_load_b96 s[16:18], s[0:1], 0x78
	s_load_b64 s[2:3], s[0:1], 0x20
	s_load_b64 s[4:5], s[0:1], 0x58
	v_mov_b32_e32 v1, 0
	s_add_nc_u64 s[6:7], s[0:1], 32
	s_add_nc_u64 s[8:9], s[0:1], 0x58
	s_wait_kmcnt 0x0
	s_bitcmp1_b32 s18, 0
	s_cselect_b32 s3, s7, s3
	s_cselect_b32 s2, s6, s2
	;; [unrolled: 1-line block ×4, first 2 shown]
	s_clause 0x1
	flat_load_b64 v[2:3], v1, s[2:3]
	flat_load_b64 v[4:5], v1, s[4:5]
	s_wait_loadcnt_dscnt 0x101
	s_wait_xcnt 0x1
	v_cmp_eq_f32_e64 s2, 0, v2
	v_cmp_eq_f32_e64 s3, 0, v3
	s_wait_loadcnt_dscnt 0x0
	v_cmp_eq_f32_e64 s4, 1.0, v4
	v_cmp_eq_f32_e32 vcc_lo, 0, v5
	s_and_b32 s2, s2, s3
	s_and_b32 s3, s4, vcc_lo
	s_delay_alu instid0(SALU_CYCLE_1) | instskip(NEXT) | instid1(SALU_CYCLE_1)
	s_and_b32 s2, s2, s3
	s_xor_b32 s2, s2, -1
	s_delay_alu instid0(SALU_CYCLE_1)
	s_and_saveexec_b32 s3, s2
	s_cbranch_execz .LBB51_25
; %bb.1:
	s_clause 0x1
	s_load_b32 s2, s[0:1], 0x94
	s_load_b96 s[20:22], s[0:1], 0x0
	s_bfe_u32 s3, ttmp6, 0x4000c
	s_and_b32 s4, ttmp6, 15
	s_add_co_i32 s3, s3, 1
	s_getreg_b32 s5, hwreg(HW_REG_IB_STS2, 6, 4)
	s_mul_i32 s3, ttmp9, s3
	s_delay_alu instid0(SALU_CYCLE_1) | instskip(SKIP_4) | instid1(SALU_CYCLE_1)
	s_add_co_i32 s4, s4, s3
	s_wait_kmcnt 0x0
	s_and_b32 s2, s2, 0xffff
	s_cmp_eq_u32 s5, 0
	s_cselect_b32 s3, ttmp9, s4
	v_mad_u32 v6, s3, s2, v0
	s_delay_alu instid0(VALU_DEP_1) | instskip(NEXT) | instid1(VALU_DEP_1)
	v_lshrrev_b32_e32 v1, 6, v6
	v_cmp_gt_i32_e64 s2, s21, v1
	s_and_b32 exec_lo, exec_lo, s2
	s_cbranch_execz .LBB51_25
; %bb.2:
	s_cmp_lt_i32 s22, 1
	s_cbranch_scc1 .LBB51_25
; %bb.3:
	s_load_b256 s[4:11], s[0:1], 0x28
	v_dual_lshlrev_b32 v1, 3, v1 :: v_dual_lshrrev_b32 v10, 5, v6
	s_clause 0x1
	s_load_b128 s[12:15], s[0:1], 0x60
	s_load_b64 s[2:3], s[0:1], 0x48
	s_wait_xcnt 0x0
	v_cmp_neq_f32_e64 s0, 0, v4
	s_xor_b32 s1, vcc_lo, -1
	v_bfe_u32 v7, v6, 5, 1
	v_xor_b32_e32 v6, 0x80000000, v3
	v_xor_b32_e32 v8, 0x80000000, v5
	s_or_b32 s18, s0, s1
	s_cmp_lg_u32 s16, 1
	v_lshrrev_b32_e32 v9, 5, v0
	s_cselect_b32 s16, -1, 0
	s_cmp_eq_u32 s20, 0
	v_and_b32_e32 v0, 31, v0
	s_cselect_b32 s0, -1, 0
	v_lshl_or_b32 v34, v9, 7, 0x600
	v_mul_u32_u24_e32 v35, 0x300, v9
	s_wait_kmcnt 0x0
	global_load_b128 v[20:23], v1, s[4:5]
	s_wait_xcnt 0x0
	v_mov_b32_e32 v1, 0
	s_mov_b32 s5, 0
	s_mov_b32 s4, s17
	v_mul_u32_u24_e32 v24, 24, v0
	v_lshl_or_b32 v36, v0, 2, v34
	v_dual_mov_b32 v11, v1 :: v_dual_mov_b32 v9, v4
	s_delay_alu instid0(VALU_DEP_3) | instskip(NEXT) | instid1(VALU_DEP_2)
	v_dual_mov_b32 v13, v1 :: v_dual_add_nc_u32 v37, v35, v24
	v_mul_u64_e32 v[14:15], s[14:15], v[10:11]
	v_cndmask_b32_e64 v11, 0, 1, s0
	v_lshlrev_b32_e32 v10, 3, v10
	s_and_b32 s0, s0, exec_lo
	s_delay_alu instid0(VALU_DEP_2) | instskip(NEXT) | instid1(VALU_DEP_1)
	v_dual_lshlrev_b32 v7, v11, v7 :: v_dual_mov_b32 v11, v1
	v_dual_mov_b32 v7, v2 :: v_dual_lshlrev_b32 v12, 3, v7
	s_delay_alu instid0(VALU_DEP_2) | instskip(NEXT) | instid1(VALU_DEP_2)
	v_add_nc_u64_e32 v[10:11], s[12:13], v[10:11]
	v_add_nc_u64_e32 v[12:13], s[8:9], v[12:13]
	s_cselect_b32 s8, 12, 20
	s_mov_b32 s9, s5
	v_lshl_add_u64 v[14:15], v[14:15], 3, s[12:13]
	s_mov_b32 s12, s5
	s_wait_loadcnt 0x0
	v_sub_nc_u64_e64 v[16:17], v[20:21], s[4:5]
	v_sub_nc_u64_e64 v[18:19], v[22:23], s[4:5]
	v_cmp_lt_i64_e64 s0, v[20:21], v[22:23]
	s_cselect_b32 s4, 8, 16
	s_branch .LBB51_5
.LBB51_4:                               ;   in Loop: Header=BB51_5 Depth=1
	s_wait_xcnt 0x0
	s_or_b32 exec_lo, exec_lo, s1
	s_add_co_i32 s12, s12, 32
	s_delay_alu instid0(SALU_CYCLE_1)
	s_cmp_lt_i32 s12, s22
	s_cbranch_scc0 .LBB51_25
.LBB51_5:                               ; =>This Loop Header: Depth=1
                                        ;     Child Loop BB51_8 Depth 2
                                        ;       Child Loop BB51_12 Depth 3
	v_or_b32_e32 v20, s12, v0
	v_mov_b64_e32 v[22:23], 0
	s_delay_alu instid0(VALU_DEP_2)
	v_ashrrev_i32_e32 v21, 31, v20
	s_and_saveexec_b32 s13, s0
	s_cbranch_execz .LBB51_14
; %bb.6:                                ;   in Loop: Header=BB51_5 Depth=1
	v_mov_b64_e32 v[22:23], 0
	v_mov_b64_e32 v[26:27], v[16:17]
	v_lshl_add_u64 v[24:25], v[20:21], 3, s[10:11]
	s_mov_b32 s19, 0
	v_cmp_gt_i32_e32 vcc_lo, s22, v20
	s_branch .LBB51_8
.LBB51_7:                               ;   in Loop: Header=BB51_8 Depth=2
	s_or_b32 exec_lo, exec_lo, s1
	v_add_nc_u64_e32 v[26:27], 32, v[26:27]
	s_delay_alu instid0(VALU_DEP_1) | instskip(SKIP_1) | instid1(SALU_CYCLE_1)
	v_cmp_ge_i64_e64 s1, v[26:27], v[18:19]
	s_or_b32 s19, s1, s19
	s_and_not1_b32 exec_lo, exec_lo, s19
	s_cbranch_execz .LBB51_13
.LBB51_8:                               ;   Parent Loop BB51_5 Depth=1
                                        ; =>  This Loop Header: Depth=2
                                        ;       Child Loop BB51_12 Depth 3
	s_delay_alu instid0(VALU_DEP_3) | instskip(SKIP_4) | instid1(VALU_DEP_4)
	v_add_nc_u64_e32 v[32:33], v[26:27], v[0:1]
	v_dual_mov_b32 v38, 0 :: v_dual_mov_b32 v28, 0
	v_dual_mov_b32 v29, 0 :: v_dual_mov_b32 v30, 0
	v_mov_b32_e32 v31, 0
	s_mov_b32 s20, exec_lo
	v_cmpx_lt_i64_e64 v[32:33], v[18:19]
	s_cbranch_execz .LBB51_10
; %bb.9:                                ;   in Loop: Header=BB51_8 Depth=2
	v_lshlrev_b64_e32 v[28:29], 5, v[32:33]
	v_lshl_add_u64 v[30:31], v[32:33], 2, s[6:7]
	global_load_b32 v42, v[30:31], off
	v_add_nc_u64_e32 v[32:33], v[12:13], v[28:29]
	s_delay_alu instid0(VALU_DEP_1)
	v_add_nc_u64_e32 v[38:39], s[4:5], v[32:33]
	v_add_nc_u64_e32 v[40:41], s[8:9], v[32:33]
	s_clause 0x2
	global_load_b64 v[28:29], v[32:33], off
	global_load_b32 v30, v[38:39], off
	global_load_b32 v31, v[40:41], off
	s_wait_loadcnt 0x3
	s_wait_xcnt 0x2
	v_subrev_nc_u32_e32 v32, s17, v42
	s_wait_xcnt 0x1
	s_delay_alu instid0(VALU_DEP_1)
	v_lshlrev_b32_e32 v38, 1, v32
.LBB51_10:                              ;   in Loop: Header=BB51_8 Depth=2
	s_wait_xcnt 0x0
	s_or_b32 exec_lo, exec_lo, s20
	ds_store_b32 v36, v38
	s_wait_loadcnt 0x0
	ds_store_2addr_b64 v37, v[28:29], v[30:31] offset1:1
	s_wait_dscnt 0x0
	s_barrier_signal -1
	s_barrier_wait -1
	s_and_saveexec_b32 s1, vcc_lo
	s_cbranch_execz .LBB51_7
; %bb.11:                               ;   in Loop: Header=BB51_8 Depth=2
	v_mov_b32_e32 v28, v35
	s_mov_b32 s20, 0
.LBB51_12:                              ;   Parent Loop BB51_5 Depth=1
                                        ;     Parent Loop BB51_8 Depth=2
                                        ; =>    This Inner Loop Header: Depth=3
	s_delay_alu instid0(SALU_CYCLE_1) | instskip(SKIP_1) | instid1(SALU_CYCLE_1)
	v_add_nc_u32_e32 v29, s20, v34
	s_add_co_i32 s20, s20, 8
	s_cmp_lg_u32 s20, 0x80
	ds_load_b64 v[30:31], v29
	s_wait_dscnt 0x0
	v_dual_ashrrev_i32 v33, 31, v30 :: v_dual_add_nc_u32 v38, 1, v30
	v_dual_mov_b32 v32, v30 :: v_dual_mov_b32 v40, v31
	v_dual_add_nc_u32 v30, 1, v31 :: v_dual_ashrrev_i32 v41, 31, v31
	s_delay_alu instid0(VALU_DEP_3) | instskip(NEXT) | instid1(VALU_DEP_3)
	v_ashrrev_i32_e32 v39, 31, v38
	v_mul_u64_e32 v[32:33], s[2:3], v[32:33]
	s_delay_alu instid0(VALU_DEP_3) | instskip(NEXT) | instid1(VALU_DEP_4)
	v_ashrrev_i32_e32 v31, 31, v30
	v_mul_u64_e32 v[40:41], s[2:3], v[40:41]
	s_delay_alu instid0(VALU_DEP_4) | instskip(NEXT) | instid1(VALU_DEP_3)
	v_mul_u64_e32 v[38:39], s[2:3], v[38:39]
	v_mul_u64_e32 v[30:31], s[2:3], v[30:31]
	v_lshl_add_u64 v[32:33], v[32:33], 3, v[24:25]
	global_load_b64 v[42:43], v[32:33], off
	v_lshl_add_u64 v[30:31], v[30:31], 3, v[24:25]
	global_load_b64 v[48:49], v[30:31], off
	s_wait_xcnt 0x1
	v_lshl_add_u64 v[32:33], v[38:39], 3, v[24:25]
	global_load_b64 v[44:45], v[32:33], off
	s_wait_xcnt 0x0
	;; [unrolled: 3-line block ×3, first 2 shown]
	ds_load_b128 v[30:33], v28
	ds_load_2addr_b64 v[38:41], v28 offset0:3 offset1:4
	v_add_nc_u32_e32 v28, 48, v28
	s_wait_loadcnt_dscnt 0x301
	v_pk_fma_f32 v[22:23], v[30:31], v[42:43], v[22:23] op_sel_hi:[1,0,1]
	s_delay_alu instid0(VALU_DEP_1) | instskip(SKIP_3) | instid1(VALU_DEP_3)
	v_pk_fma_f32 v[22:23], v[30:31], v[42:43], v[22:23] op_sel:[1,1,0] op_sel_hi:[0,1,1] neg_lo:[1,0,0]
	v_xor_b32_e32 v30, 0x80000000, v33
	v_mov_b32_e32 v31, v32
	s_wait_loadcnt 0x1
	v_pk_fma_f32 v[22:23], v[32:33], v[44:45], v[22:23] op_sel_hi:[1,0,1]
	s_delay_alu instid0(VALU_DEP_1)
	v_pk_fma_f32 v[22:23], v[30:31], v[44:45], v[22:23] op_sel:[0,1,0]
	s_wait_dscnt 0x0
	v_xor_b32_e32 v30, 0x80000000, v41
	v_mov_b32_e32 v31, v40
	s_wait_loadcnt 0x0
	v_pk_fma_f32 v[22:23], v[38:39], v[46:47], v[22:23] op_sel_hi:[1,0,1]
	s_delay_alu instid0(VALU_DEP_1) | instskip(NEXT) | instid1(VALU_DEP_1)
	v_pk_fma_f32 v[22:23], v[38:39], v[46:47], v[22:23] op_sel:[1,1,0] op_sel_hi:[0,1,1] neg_lo:[1,0,0]
	v_pk_fma_f32 v[22:23], v[40:41], v[48:49], v[22:23] op_sel_hi:[1,0,1]
	s_delay_alu instid0(VALU_DEP_1)
	v_pk_fma_f32 v[22:23], v[30:31], v[48:49], v[22:23] op_sel:[0,1,0]
	s_cbranch_scc1 .LBB51_12
	s_branch .LBB51_7
.LBB51_13:                              ;   in Loop: Header=BB51_5 Depth=1
	s_or_b32 exec_lo, exec_lo, s19
.LBB51_14:                              ;   in Loop: Header=BB51_5 Depth=1
	s_delay_alu instid0(SALU_CYCLE_1) | instskip(NEXT) | instid1(SALU_CYCLE_1)
	s_or_b32 exec_lo, exec_lo, s13
	s_mov_b32 s1, exec_lo
	v_cmpx_gt_i32_e64 s22, v20
	s_cbranch_execz .LBB51_4
; %bb.15:                               ;   in Loop: Header=BB51_5 Depth=1
	s_and_saveexec_b32 s13, s18
	s_delay_alu instid0(SALU_CYCLE_1)
	s_xor_b32 s13, exec_lo, s13
	s_cbranch_execz .LBB51_20
; %bb.16:                               ;   in Loop: Header=BB51_5 Depth=1
	s_and_b32 vcc_lo, exec_lo, s16
	s_mov_b32 s19, -1
	s_cbranch_vccz .LBB51_18
; %bb.17:                               ;   in Loop: Header=BB51_5 Depth=1
	v_lshl_add_u64 v[24:25], v[20:21], 3, v[14:15]
	v_pk_mul_f32 v[28:29], v[22:23], v[6:7] op_sel:[1,0]
	s_mov_b32 s19, 0
	global_load_b64 v[26:27], v[24:25], off
	v_pk_fma_f32 v[28:29], v[2:3], v[22:23], v[28:29] op_sel_hi:[1,0,1]
	s_wait_loadcnt 0x0
	s_delay_alu instid0(VALU_DEP_1) | instskip(NEXT) | instid1(VALU_DEP_1)
	v_pk_fma_f32 v[28:29], v[4:5], v[26:27], v[28:29] op_sel_hi:[1,0,1]
	v_pk_fma_f32 v[26:27], v[8:9], v[26:27], v[28:29] op_sel:[0,1,0]
	global_store_b64 v[24:25], v[26:27], off
.LBB51_18:                              ;   in Loop: Header=BB51_5 Depth=1
	s_and_not1_b32 vcc_lo, exec_lo, s19
	s_cbranch_vccnz .LBB51_20
; %bb.19:                               ;   in Loop: Header=BB51_5 Depth=1
	v_mul_u64_e32 v[20:21], s[14:15], v[20:21]
	s_wait_xcnt 0x0
	v_pk_mul_f32 v[26:27], v[22:23], v[6:7] op_sel:[1,0]
	s_delay_alu instid0(VALU_DEP_1) | instskip(NEXT) | instid1(VALU_DEP_3)
	v_pk_fma_f32 v[22:23], v[2:3], v[22:23], v[26:27] op_sel_hi:[1,0,1]
	v_lshl_add_u64 v[20:21], v[20:21], 3, v[10:11]
	global_load_b64 v[24:25], v[20:21], off
	s_wait_loadcnt 0x0
	v_pk_fma_f32 v[22:23], v[4:5], v[24:25], v[22:23] op_sel_hi:[1,0,1]
	s_delay_alu instid0(VALU_DEP_1)
	v_pk_fma_f32 v[22:23], v[8:9], v[24:25], v[22:23] op_sel:[0,1,0]
	global_store_b64 v[20:21], v[22:23], off
                                        ; implicit-def: $vgpr22_vgpr23
                                        ; implicit-def: $vgpr20
.LBB51_20:                              ;   in Loop: Header=BB51_5 Depth=1
	s_wait_xcnt 0x0
	s_and_not1_saveexec_b32 s13, s13
	s_cbranch_execz .LBB51_4
; %bb.21:                               ;   in Loop: Header=BB51_5 Depth=1
	v_pk_mul_f32 v[24:25], v[22:23], v[6:7] op_sel:[1,0]
	s_and_b32 vcc_lo, exec_lo, s16
	s_mov_b32 s13, -1
	s_delay_alu instid0(VALU_DEP_1)
	v_pk_fma_f32 v[22:23], v[2:3], v[22:23], v[24:25] op_sel_hi:[1,0,1]
	s_cbranch_vccz .LBB51_23
; %bb.22:                               ;   in Loop: Header=BB51_5 Depth=1
	v_lshl_add_u64 v[24:25], v[20:21], 3, v[14:15]
	s_mov_b32 s13, 0
	global_store_b64 v[24:25], v[22:23], off
.LBB51_23:                              ;   in Loop: Header=BB51_5 Depth=1
	s_and_not1_b32 vcc_lo, exec_lo, s13
	s_cbranch_vccnz .LBB51_4
; %bb.24:                               ;   in Loop: Header=BB51_5 Depth=1
	v_mul_u64_e32 v[20:21], s[14:15], v[20:21]
	s_delay_alu instid0(VALU_DEP_1)
	v_lshl_add_u64 v[20:21], v[20:21], 3, v[10:11]
	global_store_b64 v[20:21], v[22:23], off
	s_branch .LBB51_4
.LBB51_25:
	s_endpgm
	.section	.rodata,"a",@progbits
	.p2align	6, 0x0
	.amdhsa_kernel _ZN9rocsparseL29bsrmmnt_small_blockdim_kernelILj64ELj32ELj2Eli21rocsparse_complex_numIfES2_S2_S2_EEv20rocsparse_direction_T3_S4_llNS_24const_host_device_scalarIT7_EEPKT2_PKS4_PKT4_PKT5_llS7_PT6_ll16rocsparse_order_21rocsparse_index_base_b
		.amdhsa_group_segment_fixed_size 1792
		.amdhsa_private_segment_fixed_size 0
		.amdhsa_kernarg_size 392
		.amdhsa_user_sgpr_count 2
		.amdhsa_user_sgpr_dispatch_ptr 0
		.amdhsa_user_sgpr_queue_ptr 0
		.amdhsa_user_sgpr_kernarg_segment_ptr 1
		.amdhsa_user_sgpr_dispatch_id 0
		.amdhsa_user_sgpr_kernarg_preload_length 0
		.amdhsa_user_sgpr_kernarg_preload_offset 0
		.amdhsa_user_sgpr_private_segment_size 0
		.amdhsa_wavefront_size32 1
		.amdhsa_uses_dynamic_stack 0
		.amdhsa_enable_private_segment 0
		.amdhsa_system_sgpr_workgroup_id_x 1
		.amdhsa_system_sgpr_workgroup_id_y 0
		.amdhsa_system_sgpr_workgroup_id_z 0
		.amdhsa_system_sgpr_workgroup_info 0
		.amdhsa_system_vgpr_workitem_id 0
		.amdhsa_next_free_vgpr 50
		.amdhsa_next_free_sgpr 23
		.amdhsa_named_barrier_count 0
		.amdhsa_reserve_vcc 1
		.amdhsa_float_round_mode_32 0
		.amdhsa_float_round_mode_16_64 0
		.amdhsa_float_denorm_mode_32 3
		.amdhsa_float_denorm_mode_16_64 3
		.amdhsa_fp16_overflow 0
		.amdhsa_memory_ordered 1
		.amdhsa_forward_progress 1
		.amdhsa_inst_pref_size 13
		.amdhsa_round_robin_scheduling 0
		.amdhsa_exception_fp_ieee_invalid_op 0
		.amdhsa_exception_fp_denorm_src 0
		.amdhsa_exception_fp_ieee_div_zero 0
		.amdhsa_exception_fp_ieee_overflow 0
		.amdhsa_exception_fp_ieee_underflow 0
		.amdhsa_exception_fp_ieee_inexact 0
		.amdhsa_exception_int_div_zero 0
	.end_amdhsa_kernel
	.section	.text._ZN9rocsparseL29bsrmmnt_small_blockdim_kernelILj64ELj32ELj2Eli21rocsparse_complex_numIfES2_S2_S2_EEv20rocsparse_direction_T3_S4_llNS_24const_host_device_scalarIT7_EEPKT2_PKS4_PKT4_PKT5_llS7_PT6_ll16rocsparse_order_21rocsparse_index_base_b,"axG",@progbits,_ZN9rocsparseL29bsrmmnt_small_blockdim_kernelILj64ELj32ELj2Eli21rocsparse_complex_numIfES2_S2_S2_EEv20rocsparse_direction_T3_S4_llNS_24const_host_device_scalarIT7_EEPKT2_PKS4_PKT4_PKT5_llS7_PT6_ll16rocsparse_order_21rocsparse_index_base_b,comdat
.Lfunc_end51:
	.size	_ZN9rocsparseL29bsrmmnt_small_blockdim_kernelILj64ELj32ELj2Eli21rocsparse_complex_numIfES2_S2_S2_EEv20rocsparse_direction_T3_S4_llNS_24const_host_device_scalarIT7_EEPKT2_PKS4_PKT4_PKT5_llS7_PT6_ll16rocsparse_order_21rocsparse_index_base_b, .Lfunc_end51-_ZN9rocsparseL29bsrmmnt_small_blockdim_kernelILj64ELj32ELj2Eli21rocsparse_complex_numIfES2_S2_S2_EEv20rocsparse_direction_T3_S4_llNS_24const_host_device_scalarIT7_EEPKT2_PKS4_PKT4_PKT5_llS7_PT6_ll16rocsparse_order_21rocsparse_index_base_b
                                        ; -- End function
	.set _ZN9rocsparseL29bsrmmnt_small_blockdim_kernelILj64ELj32ELj2Eli21rocsparse_complex_numIfES2_S2_S2_EEv20rocsparse_direction_T3_S4_llNS_24const_host_device_scalarIT7_EEPKT2_PKS4_PKT4_PKT5_llS7_PT6_ll16rocsparse_order_21rocsparse_index_base_b.num_vgpr, 50
	.set _ZN9rocsparseL29bsrmmnt_small_blockdim_kernelILj64ELj32ELj2Eli21rocsparse_complex_numIfES2_S2_S2_EEv20rocsparse_direction_T3_S4_llNS_24const_host_device_scalarIT7_EEPKT2_PKS4_PKT4_PKT5_llS7_PT6_ll16rocsparse_order_21rocsparse_index_base_b.num_agpr, 0
	.set _ZN9rocsparseL29bsrmmnt_small_blockdim_kernelILj64ELj32ELj2Eli21rocsparse_complex_numIfES2_S2_S2_EEv20rocsparse_direction_T3_S4_llNS_24const_host_device_scalarIT7_EEPKT2_PKS4_PKT4_PKT5_llS7_PT6_ll16rocsparse_order_21rocsparse_index_base_b.numbered_sgpr, 23
	.set _ZN9rocsparseL29bsrmmnt_small_blockdim_kernelILj64ELj32ELj2Eli21rocsparse_complex_numIfES2_S2_S2_EEv20rocsparse_direction_T3_S4_llNS_24const_host_device_scalarIT7_EEPKT2_PKS4_PKT4_PKT5_llS7_PT6_ll16rocsparse_order_21rocsparse_index_base_b.num_named_barrier, 0
	.set _ZN9rocsparseL29bsrmmnt_small_blockdim_kernelILj64ELj32ELj2Eli21rocsparse_complex_numIfES2_S2_S2_EEv20rocsparse_direction_T3_S4_llNS_24const_host_device_scalarIT7_EEPKT2_PKS4_PKT4_PKT5_llS7_PT6_ll16rocsparse_order_21rocsparse_index_base_b.private_seg_size, 0
	.set _ZN9rocsparseL29bsrmmnt_small_blockdim_kernelILj64ELj32ELj2Eli21rocsparse_complex_numIfES2_S2_S2_EEv20rocsparse_direction_T3_S4_llNS_24const_host_device_scalarIT7_EEPKT2_PKS4_PKT4_PKT5_llS7_PT6_ll16rocsparse_order_21rocsparse_index_base_b.uses_vcc, 1
	.set _ZN9rocsparseL29bsrmmnt_small_blockdim_kernelILj64ELj32ELj2Eli21rocsparse_complex_numIfES2_S2_S2_EEv20rocsparse_direction_T3_S4_llNS_24const_host_device_scalarIT7_EEPKT2_PKS4_PKT4_PKT5_llS7_PT6_ll16rocsparse_order_21rocsparse_index_base_b.uses_flat_scratch, 1
	.set _ZN9rocsparseL29bsrmmnt_small_blockdim_kernelILj64ELj32ELj2Eli21rocsparse_complex_numIfES2_S2_S2_EEv20rocsparse_direction_T3_S4_llNS_24const_host_device_scalarIT7_EEPKT2_PKS4_PKT4_PKT5_llS7_PT6_ll16rocsparse_order_21rocsparse_index_base_b.has_dyn_sized_stack, 0
	.set _ZN9rocsparseL29bsrmmnt_small_blockdim_kernelILj64ELj32ELj2Eli21rocsparse_complex_numIfES2_S2_S2_EEv20rocsparse_direction_T3_S4_llNS_24const_host_device_scalarIT7_EEPKT2_PKS4_PKT4_PKT5_llS7_PT6_ll16rocsparse_order_21rocsparse_index_base_b.has_recursion, 0
	.set _ZN9rocsparseL29bsrmmnt_small_blockdim_kernelILj64ELj32ELj2Eli21rocsparse_complex_numIfES2_S2_S2_EEv20rocsparse_direction_T3_S4_llNS_24const_host_device_scalarIT7_EEPKT2_PKS4_PKT4_PKT5_llS7_PT6_ll16rocsparse_order_21rocsparse_index_base_b.has_indirect_call, 0
	.section	.AMDGPU.csdata,"",@progbits
; Kernel info:
; codeLenInByte = 1588
; TotalNumSgprs: 25
; NumVgprs: 50
; ScratchSize: 0
; MemoryBound: 0
; FloatMode: 240
; IeeeMode: 1
; LDSByteSize: 1792 bytes/workgroup (compile time only)
; SGPRBlocks: 0
; VGPRBlocks: 3
; NumSGPRsForWavesPerEU: 25
; NumVGPRsForWavesPerEU: 50
; NamedBarCnt: 0
; Occupancy: 16
; WaveLimiterHint : 0
; COMPUTE_PGM_RSRC2:SCRATCH_EN: 0
; COMPUTE_PGM_RSRC2:USER_SGPR: 2
; COMPUTE_PGM_RSRC2:TRAP_HANDLER: 0
; COMPUTE_PGM_RSRC2:TGID_X_EN: 1
; COMPUTE_PGM_RSRC2:TGID_Y_EN: 0
; COMPUTE_PGM_RSRC2:TGID_Z_EN: 0
; COMPUTE_PGM_RSRC2:TIDIG_COMP_CNT: 0
	.section	.text._ZN9rocsparseL29bsrmmnt_small_blockdim_kernelILj64ELj64ELj2Eli21rocsparse_complex_numIfES2_S2_S2_EEv20rocsparse_direction_T3_S4_llNS_24const_host_device_scalarIT7_EEPKT2_PKS4_PKT4_PKT5_llS7_PT6_ll16rocsparse_order_21rocsparse_index_base_b,"axG",@progbits,_ZN9rocsparseL29bsrmmnt_small_blockdim_kernelILj64ELj64ELj2Eli21rocsparse_complex_numIfES2_S2_S2_EEv20rocsparse_direction_T3_S4_llNS_24const_host_device_scalarIT7_EEPKT2_PKS4_PKT4_PKT5_llS7_PT6_ll16rocsparse_order_21rocsparse_index_base_b,comdat
	.globl	_ZN9rocsparseL29bsrmmnt_small_blockdim_kernelILj64ELj64ELj2Eli21rocsparse_complex_numIfES2_S2_S2_EEv20rocsparse_direction_T3_S4_llNS_24const_host_device_scalarIT7_EEPKT2_PKS4_PKT4_PKT5_llS7_PT6_ll16rocsparse_order_21rocsparse_index_base_b ; -- Begin function _ZN9rocsparseL29bsrmmnt_small_blockdim_kernelILj64ELj64ELj2Eli21rocsparse_complex_numIfES2_S2_S2_EEv20rocsparse_direction_T3_S4_llNS_24const_host_device_scalarIT7_EEPKT2_PKS4_PKT4_PKT5_llS7_PT6_ll16rocsparse_order_21rocsparse_index_base_b
	.p2align	8
	.type	_ZN9rocsparseL29bsrmmnt_small_blockdim_kernelILj64ELj64ELj2Eli21rocsparse_complex_numIfES2_S2_S2_EEv20rocsparse_direction_T3_S4_llNS_24const_host_device_scalarIT7_EEPKT2_PKS4_PKT4_PKT5_llS7_PT6_ll16rocsparse_order_21rocsparse_index_base_b,@function
_ZN9rocsparseL29bsrmmnt_small_blockdim_kernelILj64ELj64ELj2Eli21rocsparse_complex_numIfES2_S2_S2_EEv20rocsparse_direction_T3_S4_llNS_24const_host_device_scalarIT7_EEPKT2_PKS4_PKT4_PKT5_llS7_PT6_ll16rocsparse_order_21rocsparse_index_base_b: ; @_ZN9rocsparseL29bsrmmnt_small_blockdim_kernelILj64ELj64ELj2Eli21rocsparse_complex_numIfES2_S2_S2_EEv20rocsparse_direction_T3_S4_llNS_24const_host_device_scalarIT7_EEPKT2_PKS4_PKT4_PKT5_llS7_PT6_ll16rocsparse_order_21rocsparse_index_base_b
; %bb.0:
	s_clause 0x2
	s_load_b96 s[16:18], s[0:1], 0x78
	s_load_b64 s[2:3], s[0:1], 0x20
	s_load_b64 s[4:5], s[0:1], 0x58
	v_mov_b32_e32 v1, 0
	s_add_nc_u64 s[6:7], s[0:1], 32
	s_add_nc_u64 s[8:9], s[0:1], 0x58
	s_wait_kmcnt 0x0
	s_bitcmp1_b32 s18, 0
	s_cselect_b32 s3, s7, s3
	s_cselect_b32 s2, s6, s2
	;; [unrolled: 1-line block ×4, first 2 shown]
	s_clause 0x1
	flat_load_b64 v[2:3], v1, s[2:3]
	flat_load_b64 v[4:5], v1, s[4:5]
	s_wait_loadcnt_dscnt 0x101
	s_wait_xcnt 0x1
	v_cmp_eq_f32_e64 s2, 0, v2
	v_cmp_eq_f32_e64 s3, 0, v3
	s_wait_loadcnt_dscnt 0x0
	v_cmp_eq_f32_e64 s4, 1.0, v4
	v_cmp_eq_f32_e32 vcc_lo, 0, v5
	s_and_b32 s2, s2, s3
	s_and_b32 s3, s4, vcc_lo
	s_delay_alu instid0(SALU_CYCLE_1) | instskip(NEXT) | instid1(SALU_CYCLE_1)
	s_and_b32 s2, s2, s3
	s_xor_b32 s2, s2, -1
	s_delay_alu instid0(SALU_CYCLE_1)
	s_and_saveexec_b32 s3, s2
	s_cbranch_execz .LBB52_25
; %bb.1:
	s_clause 0x1
	s_load_b32 s2, s[0:1], 0x94
	s_load_b96 s[20:22], s[0:1], 0x0
	s_bfe_u32 s3, ttmp6, 0x4000c
	s_and_b32 s4, ttmp6, 15
	s_add_co_i32 s3, s3, 1
	s_getreg_b32 s5, hwreg(HW_REG_IB_STS2, 6, 4)
	s_mul_i32 s3, ttmp9, s3
	s_delay_alu instid0(SALU_CYCLE_1) | instskip(SKIP_4) | instid1(SALU_CYCLE_1)
	s_add_co_i32 s4, s4, s3
	s_wait_kmcnt 0x0
	s_and_b32 s2, s2, 0xffff
	s_cmp_eq_u32 s5, 0
	s_cselect_b32 s3, ttmp9, s4
	v_mad_u32 v6, s3, s2, v0
	s_delay_alu instid0(VALU_DEP_1) | instskip(NEXT) | instid1(VALU_DEP_1)
	v_lshrrev_b32_e32 v1, 7, v6
	v_cmp_gt_i32_e64 s2, s21, v1
	s_and_b32 exec_lo, exec_lo, s2
	s_cbranch_execz .LBB52_25
; %bb.2:
	s_cmp_lt_i32 s22, 1
	s_cbranch_scc1 .LBB52_25
; %bb.3:
	s_load_b256 s[4:11], s[0:1], 0x28
	v_dual_lshlrev_b32 v1, 3, v1 :: v_dual_lshrrev_b32 v8, 6, v6
	s_clause 0x1
	s_load_b128 s[12:15], s[0:1], 0x60
	s_load_b64 s[2:3], s[0:1], 0x48
	s_wait_xcnt 0x0
	v_cmp_neq_f32_e64 s0, 0, v4
	s_xor_b32 s1, vcc_lo, -1
	v_bfe_u32 v6, v6, 6, 1
	v_lshl_or_b32 v34, v0, 2, 0x600
	v_mul_u32_u24_e32 v35, 24, v0
	s_or_b32 s18, s0, s1
	s_cmp_lg_u32 s16, 1
	v_lshlrev_b32_e32 v10, 3, v8
	s_cselect_b32 s16, -1, 0
	s_cmp_eq_u32 s20, 0
	s_cselect_b32 s0, -1, 0
	s_delay_alu instid0(SALU_CYCLE_1)
	v_cndmask_b32_e64 v7, 0, 1, s0
	s_and_b32 s0, s0, exec_lo
	s_wait_kmcnt 0x0
	global_load_b128 v[20:23], v1, s[4:5]
	s_wait_xcnt 0x0
	v_mov_b32_e32 v1, 0
	s_mov_b32 s5, 0
	v_lshlrev_b32_e32 v6, v7, v6
	s_mov_b32 s4, s17
	s_delay_alu instid0(VALU_DEP_2) | instskip(SKIP_1) | instid1(VALU_DEP_3)
	v_dual_mov_b32 v7, v2 :: v_dual_mov_b32 v9, v1
	v_dual_mov_b32 v11, v1 :: v_dual_mov_b32 v13, v1
	v_lshlrev_b32_e32 v12, 3, v6
	v_xor_b32_e32 v6, 0x80000000, v3
	s_delay_alu instid0(VALU_DEP_4) | instskip(NEXT) | instid1(VALU_DEP_4)
	v_mul_u64_e32 v[14:15], s[14:15], v[8:9]
	v_add_nc_u64_e32 v[10:11], s[12:13], v[10:11]
	v_xor_b32_e32 v8, 0x80000000, v5
	v_add_nc_u64_e32 v[12:13], s[8:9], v[12:13]
	v_mov_b32_e32 v9, v4
	s_cselect_b32 s8, 12, 20
	s_mov_b32 s9, s5
	v_lshl_add_u64 v[14:15], v[14:15], 3, s[12:13]
	s_mov_b32 s12, s5
	s_wait_loadcnt 0x0
	v_sub_nc_u64_e64 v[16:17], v[20:21], s[4:5]
	v_sub_nc_u64_e64 v[18:19], v[22:23], s[4:5]
	v_cmp_lt_i64_e64 s0, v[20:21], v[22:23]
	s_cselect_b32 s4, 8, 16
	s_branch .LBB52_5
.LBB52_4:                               ;   in Loop: Header=BB52_5 Depth=1
	s_wait_xcnt 0x0
	s_or_b32 exec_lo, exec_lo, s1
	s_add_co_i32 s12, s12, 64
	s_delay_alu instid0(SALU_CYCLE_1)
	s_cmp_lt_i32 s12, s22
	s_cbranch_scc0 .LBB52_25
.LBB52_5:                               ; =>This Loop Header: Depth=1
                                        ;     Child Loop BB52_8 Depth 2
                                        ;       Child Loop BB52_12 Depth 3
	v_or_b32_e32 v20, s12, v0
	v_mov_b64_e32 v[22:23], 0
	s_delay_alu instid0(VALU_DEP_2)
	v_ashrrev_i32_e32 v21, 31, v20
	s_and_saveexec_b32 s13, s0
	s_cbranch_execz .LBB52_14
; %bb.6:                                ;   in Loop: Header=BB52_5 Depth=1
	v_mov_b64_e32 v[22:23], 0
	v_mov_b64_e32 v[26:27], v[16:17]
	v_lshl_add_u64 v[24:25], v[20:21], 3, s[10:11]
	s_mov_b32 s19, 0
	v_cmp_gt_i32_e32 vcc_lo, s22, v20
	s_branch .LBB52_8
.LBB52_7:                               ;   in Loop: Header=BB52_8 Depth=2
	s_or_b32 exec_lo, exec_lo, s1
	v_add_nc_u64_e32 v[26:27], 64, v[26:27]
	s_delay_alu instid0(VALU_DEP_1) | instskip(SKIP_1) | instid1(SALU_CYCLE_1)
	v_cmp_ge_i64_e64 s1, v[26:27], v[18:19]
	s_or_b32 s19, s1, s19
	s_and_not1_b32 exec_lo, exec_lo, s19
	s_cbranch_execz .LBB52_13
.LBB52_8:                               ;   Parent Loop BB52_5 Depth=1
                                        ; =>  This Loop Header: Depth=2
                                        ;       Child Loop BB52_12 Depth 3
	s_delay_alu instid0(VALU_DEP_3) | instskip(SKIP_4) | instid1(VALU_DEP_4)
	v_add_nc_u64_e32 v[32:33], v[26:27], v[0:1]
	v_dual_mov_b32 v36, 0 :: v_dual_mov_b32 v28, 0
	v_dual_mov_b32 v29, 0 :: v_dual_mov_b32 v30, 0
	v_mov_b32_e32 v31, 0
	s_mov_b32 s20, exec_lo
	v_cmpx_lt_i64_e64 v[32:33], v[18:19]
	s_cbranch_execz .LBB52_10
; %bb.9:                                ;   in Loop: Header=BB52_8 Depth=2
	v_lshlrev_b64_e32 v[28:29], 5, v[32:33]
	v_lshl_add_u64 v[30:31], v[32:33], 2, s[6:7]
	global_load_b32 v40, v[30:31], off
	v_add_nc_u64_e32 v[32:33], v[12:13], v[28:29]
	s_delay_alu instid0(VALU_DEP_1)
	v_add_nc_u64_e32 v[36:37], s[4:5], v[32:33]
	v_add_nc_u64_e32 v[38:39], s[8:9], v[32:33]
	s_clause 0x2
	global_load_b64 v[28:29], v[32:33], off
	global_load_b32 v30, v[36:37], off
	global_load_b32 v31, v[38:39], off
	s_wait_loadcnt 0x3
	s_wait_xcnt 0x2
	v_subrev_nc_u32_e32 v32, s17, v40
	s_wait_xcnt 0x1
	s_delay_alu instid0(VALU_DEP_1)
	v_lshlrev_b32_e32 v36, 1, v32
.LBB52_10:                              ;   in Loop: Header=BB52_8 Depth=2
	s_wait_xcnt 0x0
	s_or_b32 exec_lo, exec_lo, s20
	ds_store_b32 v34, v36
	s_wait_loadcnt 0x0
	ds_store_2addr_b64 v35, v[28:29], v[30:31] offset1:1
	s_wait_dscnt 0x0
	s_barrier_signal -1
	s_barrier_wait -1
	s_and_saveexec_b32 s1, vcc_lo
	s_cbranch_execz .LBB52_7
; %bb.11:                               ;   in Loop: Header=BB52_8 Depth=2
	v_mov_b32_e32 v28, 0
	s_mov_b32 s20, 0
.LBB52_12:                              ;   Parent Loop BB52_5 Depth=1
                                        ;     Parent Loop BB52_8 Depth=2
                                        ; =>    This Inner Loop Header: Depth=3
	s_delay_alu instid0(SALU_CYCLE_1) | instskip(SKIP_1) | instid1(SALU_CYCLE_1)
	v_add_nc_u32_e64 v29, 0x600, s20
	s_add_co_i32 s20, s20, 8
	s_cmp_lg_u32 s20, 0x100
	ds_load_b64 v[30:31], v29
	s_wait_dscnt 0x0
	v_dual_mov_b32 v32, v30 :: v_dual_ashrrev_i32 v33, 31, v30
	v_dual_add_nc_u32 v36, 1, v30 :: v_dual_ashrrev_i32 v39, 31, v31
	v_dual_add_nc_u32 v30, 1, v31 :: v_dual_mov_b32 v38, v31
	s_delay_alu instid0(VALU_DEP_3) | instskip(NEXT) | instid1(VALU_DEP_2)
	v_mul_u64_e32 v[32:33], s[2:3], v[32:33]
	v_dual_ashrrev_i32 v37, 31, v36 :: v_dual_ashrrev_i32 v31, 31, v30
	s_delay_alu instid0(VALU_DEP_3) | instskip(NEXT) | instid1(VALU_DEP_2)
	v_mul_u64_e32 v[38:39], s[2:3], v[38:39]
	v_mul_u64_e32 v[36:37], s[2:3], v[36:37]
	s_delay_alu instid0(VALU_DEP_3)
	v_mul_u64_e32 v[30:31], s[2:3], v[30:31]
	v_lshl_add_u64 v[32:33], v[32:33], 3, v[24:25]
	global_load_b64 v[40:41], v[32:33], off
	v_lshl_add_u64 v[30:31], v[30:31], 3, v[24:25]
	global_load_b64 v[46:47], v[30:31], off
	s_wait_xcnt 0x1
	v_lshl_add_u64 v[32:33], v[36:37], 3, v[24:25]
	global_load_b64 v[42:43], v[32:33], off
	s_wait_xcnt 0x0
	;; [unrolled: 3-line block ×3, first 2 shown]
	ds_load_b128 v[30:33], v28
	ds_load_2addr_b64 v[36:39], v28 offset0:3 offset1:4
	v_add_nc_u32_e32 v28, 48, v28
	s_wait_loadcnt_dscnt 0x301
	v_pk_fma_f32 v[22:23], v[30:31], v[40:41], v[22:23] op_sel_hi:[1,0,1]
	s_delay_alu instid0(VALU_DEP_1) | instskip(SKIP_3) | instid1(VALU_DEP_3)
	v_pk_fma_f32 v[22:23], v[30:31], v[40:41], v[22:23] op_sel:[1,1,0] op_sel_hi:[0,1,1] neg_lo:[1,0,0]
	v_xor_b32_e32 v30, 0x80000000, v33
	v_mov_b32_e32 v31, v32
	s_wait_loadcnt 0x1
	v_pk_fma_f32 v[22:23], v[32:33], v[42:43], v[22:23] op_sel_hi:[1,0,1]
	s_delay_alu instid0(VALU_DEP_1)
	v_pk_fma_f32 v[22:23], v[30:31], v[42:43], v[22:23] op_sel:[0,1,0]
	s_wait_dscnt 0x0
	v_xor_b32_e32 v30, 0x80000000, v39
	v_mov_b32_e32 v31, v38
	s_wait_loadcnt 0x0
	v_pk_fma_f32 v[22:23], v[36:37], v[44:45], v[22:23] op_sel_hi:[1,0,1]
	s_delay_alu instid0(VALU_DEP_1) | instskip(NEXT) | instid1(VALU_DEP_1)
	v_pk_fma_f32 v[22:23], v[36:37], v[44:45], v[22:23] op_sel:[1,1,0] op_sel_hi:[0,1,1] neg_lo:[1,0,0]
	v_pk_fma_f32 v[22:23], v[38:39], v[46:47], v[22:23] op_sel_hi:[1,0,1]
	s_delay_alu instid0(VALU_DEP_1)
	v_pk_fma_f32 v[22:23], v[30:31], v[46:47], v[22:23] op_sel:[0,1,0]
	s_cbranch_scc1 .LBB52_12
	s_branch .LBB52_7
.LBB52_13:                              ;   in Loop: Header=BB52_5 Depth=1
	s_or_b32 exec_lo, exec_lo, s19
.LBB52_14:                              ;   in Loop: Header=BB52_5 Depth=1
	s_delay_alu instid0(SALU_CYCLE_1) | instskip(NEXT) | instid1(SALU_CYCLE_1)
	s_or_b32 exec_lo, exec_lo, s13
	s_mov_b32 s1, exec_lo
	v_cmpx_gt_i32_e64 s22, v20
	s_cbranch_execz .LBB52_4
; %bb.15:                               ;   in Loop: Header=BB52_5 Depth=1
	s_and_saveexec_b32 s13, s18
	s_delay_alu instid0(SALU_CYCLE_1)
	s_xor_b32 s13, exec_lo, s13
	s_cbranch_execz .LBB52_20
; %bb.16:                               ;   in Loop: Header=BB52_5 Depth=1
	s_and_b32 vcc_lo, exec_lo, s16
	s_mov_b32 s19, -1
	s_cbranch_vccz .LBB52_18
; %bb.17:                               ;   in Loop: Header=BB52_5 Depth=1
	v_lshl_add_u64 v[24:25], v[20:21], 3, v[14:15]
	v_pk_mul_f32 v[28:29], v[22:23], v[6:7] op_sel:[1,0]
	s_mov_b32 s19, 0
	global_load_b64 v[26:27], v[24:25], off
	v_pk_fma_f32 v[28:29], v[2:3], v[22:23], v[28:29] op_sel_hi:[1,0,1]
	s_wait_loadcnt 0x0
	s_delay_alu instid0(VALU_DEP_1) | instskip(NEXT) | instid1(VALU_DEP_1)
	v_pk_fma_f32 v[28:29], v[4:5], v[26:27], v[28:29] op_sel_hi:[1,0,1]
	v_pk_fma_f32 v[26:27], v[8:9], v[26:27], v[28:29] op_sel:[0,1,0]
	global_store_b64 v[24:25], v[26:27], off
.LBB52_18:                              ;   in Loop: Header=BB52_5 Depth=1
	s_and_not1_b32 vcc_lo, exec_lo, s19
	s_cbranch_vccnz .LBB52_20
; %bb.19:                               ;   in Loop: Header=BB52_5 Depth=1
	v_mul_u64_e32 v[20:21], s[14:15], v[20:21]
	s_wait_xcnt 0x0
	v_pk_mul_f32 v[26:27], v[22:23], v[6:7] op_sel:[1,0]
	s_delay_alu instid0(VALU_DEP_1) | instskip(NEXT) | instid1(VALU_DEP_3)
	v_pk_fma_f32 v[22:23], v[2:3], v[22:23], v[26:27] op_sel_hi:[1,0,1]
	v_lshl_add_u64 v[20:21], v[20:21], 3, v[10:11]
	global_load_b64 v[24:25], v[20:21], off
	s_wait_loadcnt 0x0
	v_pk_fma_f32 v[22:23], v[4:5], v[24:25], v[22:23] op_sel_hi:[1,0,1]
	s_delay_alu instid0(VALU_DEP_1)
	v_pk_fma_f32 v[22:23], v[8:9], v[24:25], v[22:23] op_sel:[0,1,0]
	global_store_b64 v[20:21], v[22:23], off
                                        ; implicit-def: $vgpr22_vgpr23
                                        ; implicit-def: $vgpr20
.LBB52_20:                              ;   in Loop: Header=BB52_5 Depth=1
	s_wait_xcnt 0x0
	s_and_not1_saveexec_b32 s13, s13
	s_cbranch_execz .LBB52_4
; %bb.21:                               ;   in Loop: Header=BB52_5 Depth=1
	v_pk_mul_f32 v[24:25], v[22:23], v[6:7] op_sel:[1,0]
	s_and_b32 vcc_lo, exec_lo, s16
	s_mov_b32 s13, -1
	s_delay_alu instid0(VALU_DEP_1)
	v_pk_fma_f32 v[22:23], v[2:3], v[22:23], v[24:25] op_sel_hi:[1,0,1]
	s_cbranch_vccz .LBB52_23
; %bb.22:                               ;   in Loop: Header=BB52_5 Depth=1
	v_lshl_add_u64 v[24:25], v[20:21], 3, v[14:15]
	s_mov_b32 s13, 0
	global_store_b64 v[24:25], v[22:23], off
.LBB52_23:                              ;   in Loop: Header=BB52_5 Depth=1
	s_and_not1_b32 vcc_lo, exec_lo, s13
	s_cbranch_vccnz .LBB52_4
; %bb.24:                               ;   in Loop: Header=BB52_5 Depth=1
	v_mul_u64_e32 v[20:21], s[14:15], v[20:21]
	s_delay_alu instid0(VALU_DEP_1)
	v_lshl_add_u64 v[20:21], v[20:21], 3, v[10:11]
	global_store_b64 v[20:21], v[22:23], off
	s_branch .LBB52_4
.LBB52_25:
	s_endpgm
	.section	.rodata,"a",@progbits
	.p2align	6, 0x0
	.amdhsa_kernel _ZN9rocsparseL29bsrmmnt_small_blockdim_kernelILj64ELj64ELj2Eli21rocsparse_complex_numIfES2_S2_S2_EEv20rocsparse_direction_T3_S4_llNS_24const_host_device_scalarIT7_EEPKT2_PKS4_PKT4_PKT5_llS7_PT6_ll16rocsparse_order_21rocsparse_index_base_b
		.amdhsa_group_segment_fixed_size 1792
		.amdhsa_private_segment_fixed_size 0
		.amdhsa_kernarg_size 392
		.amdhsa_user_sgpr_count 2
		.amdhsa_user_sgpr_dispatch_ptr 0
		.amdhsa_user_sgpr_queue_ptr 0
		.amdhsa_user_sgpr_kernarg_segment_ptr 1
		.amdhsa_user_sgpr_dispatch_id 0
		.amdhsa_user_sgpr_kernarg_preload_length 0
		.amdhsa_user_sgpr_kernarg_preload_offset 0
		.amdhsa_user_sgpr_private_segment_size 0
		.amdhsa_wavefront_size32 1
		.amdhsa_uses_dynamic_stack 0
		.amdhsa_enable_private_segment 0
		.amdhsa_system_sgpr_workgroup_id_x 1
		.amdhsa_system_sgpr_workgroup_id_y 0
		.amdhsa_system_sgpr_workgroup_id_z 0
		.amdhsa_system_sgpr_workgroup_info 0
		.amdhsa_system_vgpr_workitem_id 0
		.amdhsa_next_free_vgpr 48
		.amdhsa_next_free_sgpr 23
		.amdhsa_named_barrier_count 0
		.amdhsa_reserve_vcc 1
		.amdhsa_float_round_mode_32 0
		.amdhsa_float_round_mode_16_64 0
		.amdhsa_float_denorm_mode_32 3
		.amdhsa_float_denorm_mode_16_64 3
		.amdhsa_fp16_overflow 0
		.amdhsa_memory_ordered 1
		.amdhsa_forward_progress 1
		.amdhsa_inst_pref_size 13
		.amdhsa_round_robin_scheduling 0
		.amdhsa_exception_fp_ieee_invalid_op 0
		.amdhsa_exception_fp_denorm_src 0
		.amdhsa_exception_fp_ieee_div_zero 0
		.amdhsa_exception_fp_ieee_overflow 0
		.amdhsa_exception_fp_ieee_underflow 0
		.amdhsa_exception_fp_ieee_inexact 0
		.amdhsa_exception_int_div_zero 0
	.end_amdhsa_kernel
	.section	.text._ZN9rocsparseL29bsrmmnt_small_blockdim_kernelILj64ELj64ELj2Eli21rocsparse_complex_numIfES2_S2_S2_EEv20rocsparse_direction_T3_S4_llNS_24const_host_device_scalarIT7_EEPKT2_PKS4_PKT4_PKT5_llS7_PT6_ll16rocsparse_order_21rocsparse_index_base_b,"axG",@progbits,_ZN9rocsparseL29bsrmmnt_small_blockdim_kernelILj64ELj64ELj2Eli21rocsparse_complex_numIfES2_S2_S2_EEv20rocsparse_direction_T3_S4_llNS_24const_host_device_scalarIT7_EEPKT2_PKS4_PKT4_PKT5_llS7_PT6_ll16rocsparse_order_21rocsparse_index_base_b,comdat
.Lfunc_end52:
	.size	_ZN9rocsparseL29bsrmmnt_small_blockdim_kernelILj64ELj64ELj2Eli21rocsparse_complex_numIfES2_S2_S2_EEv20rocsparse_direction_T3_S4_llNS_24const_host_device_scalarIT7_EEPKT2_PKS4_PKT4_PKT5_llS7_PT6_ll16rocsparse_order_21rocsparse_index_base_b, .Lfunc_end52-_ZN9rocsparseL29bsrmmnt_small_blockdim_kernelILj64ELj64ELj2Eli21rocsparse_complex_numIfES2_S2_S2_EEv20rocsparse_direction_T3_S4_llNS_24const_host_device_scalarIT7_EEPKT2_PKS4_PKT4_PKT5_llS7_PT6_ll16rocsparse_order_21rocsparse_index_base_b
                                        ; -- End function
	.set _ZN9rocsparseL29bsrmmnt_small_blockdim_kernelILj64ELj64ELj2Eli21rocsparse_complex_numIfES2_S2_S2_EEv20rocsparse_direction_T3_S4_llNS_24const_host_device_scalarIT7_EEPKT2_PKS4_PKT4_PKT5_llS7_PT6_ll16rocsparse_order_21rocsparse_index_base_b.num_vgpr, 48
	.set _ZN9rocsparseL29bsrmmnt_small_blockdim_kernelILj64ELj64ELj2Eli21rocsparse_complex_numIfES2_S2_S2_EEv20rocsparse_direction_T3_S4_llNS_24const_host_device_scalarIT7_EEPKT2_PKS4_PKT4_PKT5_llS7_PT6_ll16rocsparse_order_21rocsparse_index_base_b.num_agpr, 0
	.set _ZN9rocsparseL29bsrmmnt_small_blockdim_kernelILj64ELj64ELj2Eli21rocsparse_complex_numIfES2_S2_S2_EEv20rocsparse_direction_T3_S4_llNS_24const_host_device_scalarIT7_EEPKT2_PKS4_PKT4_PKT5_llS7_PT6_ll16rocsparse_order_21rocsparse_index_base_b.numbered_sgpr, 23
	.set _ZN9rocsparseL29bsrmmnt_small_blockdim_kernelILj64ELj64ELj2Eli21rocsparse_complex_numIfES2_S2_S2_EEv20rocsparse_direction_T3_S4_llNS_24const_host_device_scalarIT7_EEPKT2_PKS4_PKT4_PKT5_llS7_PT6_ll16rocsparse_order_21rocsparse_index_base_b.num_named_barrier, 0
	.set _ZN9rocsparseL29bsrmmnt_small_blockdim_kernelILj64ELj64ELj2Eli21rocsparse_complex_numIfES2_S2_S2_EEv20rocsparse_direction_T3_S4_llNS_24const_host_device_scalarIT7_EEPKT2_PKS4_PKT4_PKT5_llS7_PT6_ll16rocsparse_order_21rocsparse_index_base_b.private_seg_size, 0
	.set _ZN9rocsparseL29bsrmmnt_small_blockdim_kernelILj64ELj64ELj2Eli21rocsparse_complex_numIfES2_S2_S2_EEv20rocsparse_direction_T3_S4_llNS_24const_host_device_scalarIT7_EEPKT2_PKS4_PKT4_PKT5_llS7_PT6_ll16rocsparse_order_21rocsparse_index_base_b.uses_vcc, 1
	.set _ZN9rocsparseL29bsrmmnt_small_blockdim_kernelILj64ELj64ELj2Eli21rocsparse_complex_numIfES2_S2_S2_EEv20rocsparse_direction_T3_S4_llNS_24const_host_device_scalarIT7_EEPKT2_PKS4_PKT4_PKT5_llS7_PT6_ll16rocsparse_order_21rocsparse_index_base_b.uses_flat_scratch, 1
	.set _ZN9rocsparseL29bsrmmnt_small_blockdim_kernelILj64ELj64ELj2Eli21rocsparse_complex_numIfES2_S2_S2_EEv20rocsparse_direction_T3_S4_llNS_24const_host_device_scalarIT7_EEPKT2_PKS4_PKT4_PKT5_llS7_PT6_ll16rocsparse_order_21rocsparse_index_base_b.has_dyn_sized_stack, 0
	.set _ZN9rocsparseL29bsrmmnt_small_blockdim_kernelILj64ELj64ELj2Eli21rocsparse_complex_numIfES2_S2_S2_EEv20rocsparse_direction_T3_S4_llNS_24const_host_device_scalarIT7_EEPKT2_PKS4_PKT4_PKT5_llS7_PT6_ll16rocsparse_order_21rocsparse_index_base_b.has_recursion, 0
	.set _ZN9rocsparseL29bsrmmnt_small_blockdim_kernelILj64ELj64ELj2Eli21rocsparse_complex_numIfES2_S2_S2_EEv20rocsparse_direction_T3_S4_llNS_24const_host_device_scalarIT7_EEPKT2_PKS4_PKT4_PKT5_llS7_PT6_ll16rocsparse_order_21rocsparse_index_base_b.has_indirect_call, 0
	.section	.AMDGPU.csdata,"",@progbits
; Kernel info:
; codeLenInByte = 1564
; TotalNumSgprs: 25
; NumVgprs: 48
; ScratchSize: 0
; MemoryBound: 0
; FloatMode: 240
; IeeeMode: 1
; LDSByteSize: 1792 bytes/workgroup (compile time only)
; SGPRBlocks: 0
; VGPRBlocks: 2
; NumSGPRsForWavesPerEU: 25
; NumVGPRsForWavesPerEU: 48
; NamedBarCnt: 0
; Occupancy: 16
; WaveLimiterHint : 0
; COMPUTE_PGM_RSRC2:SCRATCH_EN: 0
; COMPUTE_PGM_RSRC2:USER_SGPR: 2
; COMPUTE_PGM_RSRC2:TRAP_HANDLER: 0
; COMPUTE_PGM_RSRC2:TGID_X_EN: 1
; COMPUTE_PGM_RSRC2:TGID_Y_EN: 0
; COMPUTE_PGM_RSRC2:TGID_Z_EN: 0
; COMPUTE_PGM_RSRC2:TIDIG_COMP_CNT: 0
	.section	.text._ZN9rocsparseL29bsrmmnt_small_blockdim_kernelILj64ELj8ELj2Ell21rocsparse_complex_numIfES2_S2_S2_EEv20rocsparse_direction_T3_S4_llNS_24const_host_device_scalarIT7_EEPKT2_PKS4_PKT4_PKT5_llS7_PT6_ll16rocsparse_order_21rocsparse_index_base_b,"axG",@progbits,_ZN9rocsparseL29bsrmmnt_small_blockdim_kernelILj64ELj8ELj2Ell21rocsparse_complex_numIfES2_S2_S2_EEv20rocsparse_direction_T3_S4_llNS_24const_host_device_scalarIT7_EEPKT2_PKS4_PKT4_PKT5_llS7_PT6_ll16rocsparse_order_21rocsparse_index_base_b,comdat
	.globl	_ZN9rocsparseL29bsrmmnt_small_blockdim_kernelILj64ELj8ELj2Ell21rocsparse_complex_numIfES2_S2_S2_EEv20rocsparse_direction_T3_S4_llNS_24const_host_device_scalarIT7_EEPKT2_PKS4_PKT4_PKT5_llS7_PT6_ll16rocsparse_order_21rocsparse_index_base_b ; -- Begin function _ZN9rocsparseL29bsrmmnt_small_blockdim_kernelILj64ELj8ELj2Ell21rocsparse_complex_numIfES2_S2_S2_EEv20rocsparse_direction_T3_S4_llNS_24const_host_device_scalarIT7_EEPKT2_PKS4_PKT4_PKT5_llS7_PT6_ll16rocsparse_order_21rocsparse_index_base_b
	.p2align	8
	.type	_ZN9rocsparseL29bsrmmnt_small_blockdim_kernelILj64ELj8ELj2Ell21rocsparse_complex_numIfES2_S2_S2_EEv20rocsparse_direction_T3_S4_llNS_24const_host_device_scalarIT7_EEPKT2_PKS4_PKT4_PKT5_llS7_PT6_ll16rocsparse_order_21rocsparse_index_base_b,@function
_ZN9rocsparseL29bsrmmnt_small_blockdim_kernelILj64ELj8ELj2Ell21rocsparse_complex_numIfES2_S2_S2_EEv20rocsparse_direction_T3_S4_llNS_24const_host_device_scalarIT7_EEPKT2_PKS4_PKT4_PKT5_llS7_PT6_ll16rocsparse_order_21rocsparse_index_base_b: ; @_ZN9rocsparseL29bsrmmnt_small_blockdim_kernelILj64ELj8ELj2Ell21rocsparse_complex_numIfES2_S2_S2_EEv20rocsparse_direction_T3_S4_llNS_24const_host_device_scalarIT7_EEPKT2_PKS4_PKT4_PKT5_llS7_PT6_ll16rocsparse_order_21rocsparse_index_base_b
; %bb.0:
	s_clause 0x2
	s_load_b96 s[20:22], s[0:1], 0x80
	s_load_b64 s[2:3], s[0:1], 0x28
	s_load_b64 s[4:5], s[0:1], 0x60
	v_mov_b32_e32 v7, 0
	s_add_nc_u64 s[6:7], s[0:1], 40
	s_add_nc_u64 s[8:9], s[0:1], 0x60
	s_wait_kmcnt 0x0
	s_bitcmp1_b32 s22, 0
	s_cselect_b32 s3, s7, s3
	s_cselect_b32 s2, s6, s2
	;; [unrolled: 1-line block ×4, first 2 shown]
	s_clause 0x1
	flat_load_b64 v[2:3], v7, s[2:3]
	flat_load_b64 v[4:5], v7, s[4:5]
	s_wait_loadcnt_dscnt 0x101
	v_cmp_eq_f32_e32 vcc_lo, 0, v2
	v_cmp_eq_f32_e64 s3, 0, v3
	s_wait_loadcnt_dscnt 0x0
	v_cmp_eq_f32_e64 s4, 1.0, v4
	v_cmp_eq_f32_e64 s2, 0, v5
	s_and_b32 s3, vcc_lo, s3
	s_and_b32 s4, s4, s2
	s_delay_alu instid0(SALU_CYCLE_1) | instskip(NEXT) | instid1(SALU_CYCLE_1)
	s_and_b32 s3, s3, s4
	s_xor_b32 s3, s3, -1
	s_delay_alu instid0(SALU_CYCLE_1)
	s_and_saveexec_b32 s4, s3
	s_cbranch_execz .LBB53_27
; %bb.1:
	s_clause 0x1
	s_load_b32 s3, s[0:1], 0x9c
	s_load_b128 s[12:15], s[0:1], 0x8
	s_bfe_u32 s4, ttmp6, 0x4000c
	s_and_b32 s5, ttmp6, 15
	s_add_co_i32 s4, s4, 1
	s_getreg_b32 s6, hwreg(HW_REG_IB_STS2, 6, 4)
	s_mul_i32 s4, ttmp9, s4
	s_delay_alu instid0(SALU_CYCLE_1) | instskip(SKIP_4) | instid1(SALU_CYCLE_1)
	s_add_co_i32 s5, s5, s4
	s_wait_kmcnt 0x0
	s_and_b32 s3, s3, 0xffff
	s_cmp_eq_u32 s6, 0
	s_cselect_b32 s4, ttmp9, s5
	v_mad_u32 v10, s4, s3, v0
	s_delay_alu instid0(VALU_DEP_1) | instskip(NEXT) | instid1(VALU_DEP_1)
	v_lshrrev_b32_e32 v6, 4, v10
	v_cmp_gt_i64_e32 vcc_lo, s[12:13], v[6:7]
	s_and_b32 exec_lo, exec_lo, vcc_lo
	s_cbranch_execz .LBB53_27
; %bb.2:
	v_cmp_lt_i64_e64 s3, s[14:15], 1
	s_and_b32 vcc_lo, exec_lo, s3
	s_cbranch_vccnz .LBB53_27
; %bb.3:
	s_load_b256 s[4:11], s[0:1], 0x30
	v_dual_lshlrev_b32 v1, 3, v6 :: v_dual_mov_b32 v13, 0
	s_clause 0x1
	s_load_b128 s[16:19], s[0:1], 0x68
	s_load_b64 s[12:13], s[0:1], 0x50
	v_dual_lshrrev_b32 v12, 3, v10 :: v_dual_bitop2_b32 v6, 7, v0 bitop3:0x40
	s_wait_xcnt 0x0
	s_load_b32 s0, s[0:1], 0x0
	v_dual_lshrrev_b32 v11, 3, v0 :: v_dual_bitop2_b32 v16, 8, v10 bitop3:0x40
	v_mov_b32_e32 v17, v13
	v_cmp_neq_f32_e32 vcc_lo, 0, v4
	s_wait_xcnt 0x0
	s_xor_b32 s1, s2, -1
	v_lshl_or_b32 v36, v11, 6, 0x600
	v_mul_u32_u24_e32 v37, 0xc0, v11
	v_mul_u32_u24_e32 v24, 24, v6
	s_or_b32 s22, vcc_lo, s1
	s_cmp_lg_u32 s20, 1
	v_dual_mov_b32 v9, v4 :: v_dual_mov_b32 v7, v13
	s_wait_kmcnt 0x0
	global_load_b128 v[20:23], v1, s[4:5]
	s_wait_xcnt 0x0
	v_mov_b32_e32 v1, v2
	v_add_nc_u64_e32 v[18:19], s[8:9], v[16:17]
	v_mul_u64_e32 v[14:15], s[18:19], v[12:13]
	s_cselect_b32 s23, -1, 0
	s_mov_b32 s5, 0
	s_mov_b32 s4, s21
	s_cmp_eq_u32 s0, 0
	v_xor_b32_e32 v0, 0x80000000, v3
	v_add_nc_u64_e32 v[16:17], v[18:19], v[16:17]
	s_cselect_b32 vcc_lo, -1, 0
	v_and_b32_e32 v12, -8, v10
	s_and_b32 s0, vcc_lo, exec_lo
	v_xor_b32_e32 v8, 0x80000000, v5
	v_lshl_or_b32 v38, v6, 3, v36
	v_add_nc_u32_e32 v39, v37, v24
	v_add_nc_u64_e32 v[10:11], s[16:17], v[12:13]
	v_dual_cndmask_b32 v13, v19, v17 :: v_dual_cndmask_b32 v12, v18, v16
	s_mov_b32 s3, s5
	s_cselect_b32 s2, 12, 20
	s_cselect_b32 s8, 8, 16
	s_mov_b32 s9, s5
	s_lshl_b64 s[20:21], s[12:13], 3
	v_lshl_add_u64 v[14:15], v[14:15], 3, s[16:17]
	s_mov_b64 s[16:17], 0
	s_wait_loadcnt 0x0
	v_sub_nc_u64_e64 v[16:17], v[20:21], s[4:5]
	v_sub_nc_u64_e64 v[18:19], v[22:23], s[4:5]
	v_cmp_lt_i64_e64 s0, v[20:21], v[22:23]
	v_mov_b64_e32 v[20:21], 0
	s_branch .LBB53_5
.LBB53_4:                               ;   in Loop: Header=BB53_5 Depth=1
	s_wait_xcnt 0x0
	s_or_b32 exec_lo, exec_lo, s1
	s_add_nc_u64 s[16:17], s[16:17], 8
	s_delay_alu instid0(SALU_CYCLE_1)
	v_cmp_lt_i64_e64 s1, s[16:17], s[14:15]
	s_and_b32 vcc_lo, exec_lo, s1
	s_cbranch_vccz .LBB53_27
.LBB53_5:                               ; =>This Loop Header: Depth=1
                                        ;     Child Loop BB53_8 Depth 2
                                        ;       Child Loop BB53_14 Depth 3
	v_mov_b64_e32 v[24:25], 0
	v_dual_mov_b32 v23, s17 :: v_dual_bitop2_b32 v22, s16, v6 bitop3:0x54
	s_delay_alu instid0(VALU_DEP_4)
	s_and_saveexec_b32 s24, s0
	s_cbranch_execz .LBB53_16
; %bb.6:                                ;   in Loop: Header=BB53_5 Depth=1
	v_mov_b64_e32 v[24:25], 0
	v_mov_b64_e32 v[28:29], v[16:17]
	v_lshl_add_u64 v[26:27], v[22:23], 3, s[10:11]
	s_mov_b32 s25, 0
	v_cmp_gt_i64_e32 vcc_lo, s[14:15], v[22:23]
	s_branch .LBB53_8
.LBB53_7:                               ;   in Loop: Header=BB53_8 Depth=2
	s_or_b32 exec_lo, exec_lo, s1
	v_add_nc_u64_e32 v[28:29], 8, v[28:29]
	s_delay_alu instid0(VALU_DEP_1) | instskip(SKIP_1) | instid1(SALU_CYCLE_1)
	v_cmp_ge_i64_e64 s1, v[28:29], v[18:19]
	s_or_b32 s25, s1, s25
	s_and_not1_b32 exec_lo, exec_lo, s25
	s_cbranch_execz .LBB53_15
.LBB53_8:                               ;   Parent Loop BB53_5 Depth=1
                                        ; =>  This Loop Header: Depth=2
                                        ;       Child Loop BB53_14 Depth 3
	s_delay_alu instid0(VALU_DEP_3) | instskip(NEXT) | instid1(VALU_DEP_1)
	v_add_nc_u64_e32 v[34:35], v[28:29], v[6:7]
	v_cmp_ge_i64_e64 s1, v[34:35], v[18:19]
	s_and_saveexec_b32 s26, s1
	s_delay_alu instid0(SALU_CYCLE_1)
	s_xor_b32 s1, exec_lo, s26
; %bb.9:                                ;   in Loop: Header=BB53_8 Depth=2
	ds_store_b64 v38, v[20:21]
                                        ; implicit-def: $vgpr34_vgpr35
; %bb.10:                               ;   in Loop: Header=BB53_8 Depth=2
	s_or_saveexec_b32 s1, s1
	v_dual_mov_b32 v30, 0 :: v_dual_mov_b32 v31, 0
	v_dual_mov_b32 v32, 0 :: v_dual_mov_b32 v33, 0
	s_xor_b32 exec_lo, exec_lo, s1
	s_cbranch_execz .LBB53_12
; %bb.11:                               ;   in Loop: Header=BB53_8 Depth=2
	v_lshlrev_b64_e32 v[30:31], 5, v[34:35]
	v_lshl_add_u64 v[32:33], v[34:35], 3, s[6:7]
	global_load_b64 v[34:35], v[32:33], off
	v_add_nc_u64_e32 v[40:41], v[12:13], v[30:31]
	s_delay_alu instid0(VALU_DEP_1)
	v_add_nc_u64_e32 v[42:43], s[8:9], v[40:41]
	v_add_nc_u64_e32 v[44:45], s[2:3], v[40:41]
	s_clause 0x2
	global_load_b64 v[30:31], v[40:41], off
	global_load_b32 v32, v[42:43], off
	global_load_b32 v33, v[44:45], off
	s_wait_loadcnt 0x3
	v_sub_nc_u64_e64 v[34:35], v[34:35], s[4:5]
	s_delay_alu instid0(VALU_DEP_1)
	v_lshlrev_b64_e32 v[34:35], 1, v[34:35]
	ds_store_b64 v38, v[34:35]
.LBB53_12:                              ;   in Loop: Header=BB53_8 Depth=2
	s_wait_xcnt 0x0
	s_or_b32 exec_lo, exec_lo, s1
	s_wait_loadcnt 0x0
	ds_store_2addr_b64 v39, v[30:31], v[32:33] offset1:1
	s_wait_dscnt 0x0
	s_barrier_signal -1
	s_barrier_wait -1
	s_and_saveexec_b32 s1, vcc_lo
	s_cbranch_execz .LBB53_7
; %bb.13:                               ;   in Loop: Header=BB53_8 Depth=2
	v_mov_b32_e32 v30, v37
	s_mov_b32 s26, 0
.LBB53_14:                              ;   Parent Loop BB53_5 Depth=1
                                        ;     Parent Loop BB53_8 Depth=2
                                        ; =>    This Inner Loop Header: Depth=3
	s_delay_alu instid0(SALU_CYCLE_1) | instskip(SKIP_1) | instid1(SALU_CYCLE_1)
	v_add_nc_u32_e32 v31, s26, v36
	s_add_co_i32 s26, s26, 16
	s_cmp_lg_u32 s26, 64
	ds_load_b128 v[32:35], v31
	s_wait_dscnt 0x0
	v_mul_u64_e32 v[32:33], s[12:13], v[32:33]
	v_mul_u64_e32 v[34:35], s[12:13], v[34:35]
	s_delay_alu instid0(VALU_DEP_2)
	v_lshl_add_u64 v[32:33], v[32:33], 3, v[26:27]
	global_load_b64 v[44:45], v[32:33], off
	s_wait_xcnt 0x0
	v_add_nc_u64_e32 v[32:33], s[20:21], v[32:33]
	global_load_b64 v[46:47], v[32:33], off
	s_wait_xcnt 0x0
	v_lshl_add_u64 v[32:33], v[34:35], 3, v[26:27]
	global_load_b64 v[48:49], v[32:33], off
	s_wait_xcnt 0x0
	v_add_nc_u64_e32 v[32:33], s[20:21], v[32:33]
	global_load_b64 v[50:51], v[32:33], off
	s_wait_xcnt 0x0
	ds_load_b128 v[32:35], v30
	ds_load_2addr_b64 v[40:43], v30 offset0:3 offset1:4
	v_add_nc_u32_e32 v30, 48, v30
	s_wait_loadcnt_dscnt 0x301
	v_pk_fma_f32 v[24:25], v[32:33], v[44:45], v[24:25] op_sel_hi:[1,0,1]
	s_delay_alu instid0(VALU_DEP_1) | instskip(SKIP_3) | instid1(VALU_DEP_3)
	v_pk_fma_f32 v[24:25], v[32:33], v[44:45], v[24:25] op_sel:[1,1,0] op_sel_hi:[0,1,1] neg_lo:[1,0,0]
	v_xor_b32_e32 v32, 0x80000000, v35
	v_mov_b32_e32 v33, v34
	s_wait_loadcnt 0x2
	v_pk_fma_f32 v[24:25], v[34:35], v[46:47], v[24:25] op_sel_hi:[1,0,1]
	s_delay_alu instid0(VALU_DEP_1)
	v_pk_fma_f32 v[24:25], v[32:33], v[46:47], v[24:25] op_sel:[0,1,0]
	s_wait_dscnt 0x0
	v_xor_b32_e32 v32, 0x80000000, v43
	v_mov_b32_e32 v33, v42
	s_wait_loadcnt 0x1
	v_pk_fma_f32 v[24:25], v[40:41], v[48:49], v[24:25] op_sel_hi:[1,0,1]
	s_delay_alu instid0(VALU_DEP_1) | instskip(SKIP_1) | instid1(VALU_DEP_1)
	v_pk_fma_f32 v[24:25], v[40:41], v[48:49], v[24:25] op_sel:[1,1,0] op_sel_hi:[0,1,1] neg_lo:[1,0,0]
	s_wait_loadcnt 0x0
	v_pk_fma_f32 v[24:25], v[42:43], v[50:51], v[24:25] op_sel_hi:[1,0,1]
	s_delay_alu instid0(VALU_DEP_1)
	v_pk_fma_f32 v[24:25], v[32:33], v[50:51], v[24:25] op_sel:[0,1,0]
	s_cbranch_scc1 .LBB53_14
	s_branch .LBB53_7
.LBB53_15:                              ;   in Loop: Header=BB53_5 Depth=1
	s_or_b32 exec_lo, exec_lo, s25
.LBB53_16:                              ;   in Loop: Header=BB53_5 Depth=1
	s_delay_alu instid0(SALU_CYCLE_1) | instskip(NEXT) | instid1(SALU_CYCLE_1)
	s_or_b32 exec_lo, exec_lo, s24
	s_mov_b32 s1, exec_lo
	v_cmpx_gt_i64_e64 s[14:15], v[22:23]
	s_cbranch_execz .LBB53_4
; %bb.17:                               ;   in Loop: Header=BB53_5 Depth=1
	s_and_saveexec_b32 s24, s22
	s_delay_alu instid0(SALU_CYCLE_1)
	s_xor_b32 s24, exec_lo, s24
	s_cbranch_execz .LBB53_22
; %bb.18:                               ;   in Loop: Header=BB53_5 Depth=1
	s_and_b32 vcc_lo, exec_lo, s23
	s_mov_b32 s25, -1
	s_cbranch_vccz .LBB53_20
; %bb.19:                               ;   in Loop: Header=BB53_5 Depth=1
	v_lshl_add_u64 v[26:27], v[22:23], 3, v[14:15]
	v_pk_mul_f32 v[30:31], v[24:25], v[0:1] op_sel:[1,0]
	s_mov_b32 s25, 0
	global_load_b64 v[28:29], v[26:27], off
	v_pk_fma_f32 v[30:31], v[2:3], v[24:25], v[30:31] op_sel_hi:[1,0,1]
	s_wait_loadcnt 0x0
	s_delay_alu instid0(VALU_DEP_1) | instskip(NEXT) | instid1(VALU_DEP_1)
	v_pk_fma_f32 v[30:31], v[4:5], v[28:29], v[30:31] op_sel_hi:[1,0,1]
	v_pk_fma_f32 v[28:29], v[8:9], v[28:29], v[30:31] op_sel:[0,1,0]
	global_store_b64 v[26:27], v[28:29], off
.LBB53_20:                              ;   in Loop: Header=BB53_5 Depth=1
	s_and_not1_b32 vcc_lo, exec_lo, s25
	s_cbranch_vccnz .LBB53_22
; %bb.21:                               ;   in Loop: Header=BB53_5 Depth=1
	v_mul_u64_e32 v[22:23], s[18:19], v[22:23]
	s_wait_xcnt 0x0
	v_pk_mul_f32 v[28:29], v[24:25], v[0:1] op_sel:[1,0]
	s_delay_alu instid0(VALU_DEP_1) | instskip(NEXT) | instid1(VALU_DEP_3)
	v_pk_fma_f32 v[24:25], v[2:3], v[24:25], v[28:29] op_sel_hi:[1,0,1]
	v_lshl_add_u64 v[22:23], v[22:23], 3, v[10:11]
	global_load_b64 v[26:27], v[22:23], off
	s_wait_loadcnt 0x0
	v_pk_fma_f32 v[24:25], v[4:5], v[26:27], v[24:25] op_sel_hi:[1,0,1]
	s_delay_alu instid0(VALU_DEP_1)
	v_pk_fma_f32 v[24:25], v[8:9], v[26:27], v[24:25] op_sel:[0,1,0]
	global_store_b64 v[22:23], v[24:25], off
                                        ; implicit-def: $vgpr22_vgpr23
                                        ; implicit-def: $vgpr24_vgpr25
.LBB53_22:                              ;   in Loop: Header=BB53_5 Depth=1
	s_wait_xcnt 0x0
	s_and_not1_saveexec_b32 s24, s24
	s_cbranch_execz .LBB53_4
; %bb.23:                               ;   in Loop: Header=BB53_5 Depth=1
	v_pk_mul_f32 v[26:27], v[24:25], v[0:1] op_sel:[1,0]
	s_and_b32 vcc_lo, exec_lo, s23
	s_mov_b32 s24, -1
	s_delay_alu instid0(VALU_DEP_1)
	v_pk_fma_f32 v[24:25], v[2:3], v[24:25], v[26:27] op_sel_hi:[1,0,1]
	s_cbranch_vccz .LBB53_25
; %bb.24:                               ;   in Loop: Header=BB53_5 Depth=1
	v_lshl_add_u64 v[26:27], v[22:23], 3, v[14:15]
	s_mov_b32 s24, 0
	global_store_b64 v[26:27], v[24:25], off
.LBB53_25:                              ;   in Loop: Header=BB53_5 Depth=1
	s_and_not1_b32 vcc_lo, exec_lo, s24
	s_cbranch_vccnz .LBB53_4
; %bb.26:                               ;   in Loop: Header=BB53_5 Depth=1
	v_mul_u64_e32 v[22:23], s[18:19], v[22:23]
	s_delay_alu instid0(VALU_DEP_1)
	v_lshl_add_u64 v[22:23], v[22:23], 3, v[10:11]
	global_store_b64 v[22:23], v[24:25], off
	s_branch .LBB53_4
.LBB53_27:
	s_endpgm
	.section	.rodata,"a",@progbits
	.p2align	6, 0x0
	.amdhsa_kernel _ZN9rocsparseL29bsrmmnt_small_blockdim_kernelILj64ELj8ELj2Ell21rocsparse_complex_numIfES2_S2_S2_EEv20rocsparse_direction_T3_S4_llNS_24const_host_device_scalarIT7_EEPKT2_PKS4_PKT4_PKT5_llS7_PT6_ll16rocsparse_order_21rocsparse_index_base_b
		.amdhsa_group_segment_fixed_size 2048
		.amdhsa_private_segment_fixed_size 0
		.amdhsa_kernarg_size 400
		.amdhsa_user_sgpr_count 2
		.amdhsa_user_sgpr_dispatch_ptr 0
		.amdhsa_user_sgpr_queue_ptr 0
		.amdhsa_user_sgpr_kernarg_segment_ptr 1
		.amdhsa_user_sgpr_dispatch_id 0
		.amdhsa_user_sgpr_kernarg_preload_length 0
		.amdhsa_user_sgpr_kernarg_preload_offset 0
		.amdhsa_user_sgpr_private_segment_size 0
		.amdhsa_wavefront_size32 1
		.amdhsa_uses_dynamic_stack 0
		.amdhsa_enable_private_segment 0
		.amdhsa_system_sgpr_workgroup_id_x 1
		.amdhsa_system_sgpr_workgroup_id_y 0
		.amdhsa_system_sgpr_workgroup_id_z 0
		.amdhsa_system_sgpr_workgroup_info 0
		.amdhsa_system_vgpr_workitem_id 0
		.amdhsa_next_free_vgpr 52
		.amdhsa_next_free_sgpr 27
		.amdhsa_named_barrier_count 0
		.amdhsa_reserve_vcc 1
		.amdhsa_float_round_mode_32 0
		.amdhsa_float_round_mode_16_64 0
		.amdhsa_float_denorm_mode_32 3
		.amdhsa_float_denorm_mode_16_64 3
		.amdhsa_fp16_overflow 0
		.amdhsa_memory_ordered 1
		.amdhsa_forward_progress 1
		.amdhsa_inst_pref_size 13
		.amdhsa_round_robin_scheduling 0
		.amdhsa_exception_fp_ieee_invalid_op 0
		.amdhsa_exception_fp_denorm_src 0
		.amdhsa_exception_fp_ieee_div_zero 0
		.amdhsa_exception_fp_ieee_overflow 0
		.amdhsa_exception_fp_ieee_underflow 0
		.amdhsa_exception_fp_ieee_inexact 0
		.amdhsa_exception_int_div_zero 0
	.end_amdhsa_kernel
	.section	.text._ZN9rocsparseL29bsrmmnt_small_blockdim_kernelILj64ELj8ELj2Ell21rocsparse_complex_numIfES2_S2_S2_EEv20rocsparse_direction_T3_S4_llNS_24const_host_device_scalarIT7_EEPKT2_PKS4_PKT4_PKT5_llS7_PT6_ll16rocsparse_order_21rocsparse_index_base_b,"axG",@progbits,_ZN9rocsparseL29bsrmmnt_small_blockdim_kernelILj64ELj8ELj2Ell21rocsparse_complex_numIfES2_S2_S2_EEv20rocsparse_direction_T3_S4_llNS_24const_host_device_scalarIT7_EEPKT2_PKS4_PKT4_PKT5_llS7_PT6_ll16rocsparse_order_21rocsparse_index_base_b,comdat
.Lfunc_end53:
	.size	_ZN9rocsparseL29bsrmmnt_small_blockdim_kernelILj64ELj8ELj2Ell21rocsparse_complex_numIfES2_S2_S2_EEv20rocsparse_direction_T3_S4_llNS_24const_host_device_scalarIT7_EEPKT2_PKS4_PKT4_PKT5_llS7_PT6_ll16rocsparse_order_21rocsparse_index_base_b, .Lfunc_end53-_ZN9rocsparseL29bsrmmnt_small_blockdim_kernelILj64ELj8ELj2Ell21rocsparse_complex_numIfES2_S2_S2_EEv20rocsparse_direction_T3_S4_llNS_24const_host_device_scalarIT7_EEPKT2_PKS4_PKT4_PKT5_llS7_PT6_ll16rocsparse_order_21rocsparse_index_base_b
                                        ; -- End function
	.set _ZN9rocsparseL29bsrmmnt_small_blockdim_kernelILj64ELj8ELj2Ell21rocsparse_complex_numIfES2_S2_S2_EEv20rocsparse_direction_T3_S4_llNS_24const_host_device_scalarIT7_EEPKT2_PKS4_PKT4_PKT5_llS7_PT6_ll16rocsparse_order_21rocsparse_index_base_b.num_vgpr, 52
	.set _ZN9rocsparseL29bsrmmnt_small_blockdim_kernelILj64ELj8ELj2Ell21rocsparse_complex_numIfES2_S2_S2_EEv20rocsparse_direction_T3_S4_llNS_24const_host_device_scalarIT7_EEPKT2_PKS4_PKT4_PKT5_llS7_PT6_ll16rocsparse_order_21rocsparse_index_base_b.num_agpr, 0
	.set _ZN9rocsparseL29bsrmmnt_small_blockdim_kernelILj64ELj8ELj2Ell21rocsparse_complex_numIfES2_S2_S2_EEv20rocsparse_direction_T3_S4_llNS_24const_host_device_scalarIT7_EEPKT2_PKS4_PKT4_PKT5_llS7_PT6_ll16rocsparse_order_21rocsparse_index_base_b.numbered_sgpr, 27
	.set _ZN9rocsparseL29bsrmmnt_small_blockdim_kernelILj64ELj8ELj2Ell21rocsparse_complex_numIfES2_S2_S2_EEv20rocsparse_direction_T3_S4_llNS_24const_host_device_scalarIT7_EEPKT2_PKS4_PKT4_PKT5_llS7_PT6_ll16rocsparse_order_21rocsparse_index_base_b.num_named_barrier, 0
	.set _ZN9rocsparseL29bsrmmnt_small_blockdim_kernelILj64ELj8ELj2Ell21rocsparse_complex_numIfES2_S2_S2_EEv20rocsparse_direction_T3_S4_llNS_24const_host_device_scalarIT7_EEPKT2_PKS4_PKT4_PKT5_llS7_PT6_ll16rocsparse_order_21rocsparse_index_base_b.private_seg_size, 0
	.set _ZN9rocsparseL29bsrmmnt_small_blockdim_kernelILj64ELj8ELj2Ell21rocsparse_complex_numIfES2_S2_S2_EEv20rocsparse_direction_T3_S4_llNS_24const_host_device_scalarIT7_EEPKT2_PKS4_PKT4_PKT5_llS7_PT6_ll16rocsparse_order_21rocsparse_index_base_b.uses_vcc, 1
	.set _ZN9rocsparseL29bsrmmnt_small_blockdim_kernelILj64ELj8ELj2Ell21rocsparse_complex_numIfES2_S2_S2_EEv20rocsparse_direction_T3_S4_llNS_24const_host_device_scalarIT7_EEPKT2_PKS4_PKT4_PKT5_llS7_PT6_ll16rocsparse_order_21rocsparse_index_base_b.uses_flat_scratch, 1
	.set _ZN9rocsparseL29bsrmmnt_small_blockdim_kernelILj64ELj8ELj2Ell21rocsparse_complex_numIfES2_S2_S2_EEv20rocsparse_direction_T3_S4_llNS_24const_host_device_scalarIT7_EEPKT2_PKS4_PKT4_PKT5_llS7_PT6_ll16rocsparse_order_21rocsparse_index_base_b.has_dyn_sized_stack, 0
	.set _ZN9rocsparseL29bsrmmnt_small_blockdim_kernelILj64ELj8ELj2Ell21rocsparse_complex_numIfES2_S2_S2_EEv20rocsparse_direction_T3_S4_llNS_24const_host_device_scalarIT7_EEPKT2_PKS4_PKT4_PKT5_llS7_PT6_ll16rocsparse_order_21rocsparse_index_base_b.has_recursion, 0
	.set _ZN9rocsparseL29bsrmmnt_small_blockdim_kernelILj64ELj8ELj2Ell21rocsparse_complex_numIfES2_S2_S2_EEv20rocsparse_direction_T3_S4_llNS_24const_host_device_scalarIT7_EEPKT2_PKS4_PKT4_PKT5_llS7_PT6_ll16rocsparse_order_21rocsparse_index_base_b.has_indirect_call, 0
	.section	.AMDGPU.csdata,"",@progbits
; Kernel info:
; codeLenInByte = 1544
; TotalNumSgprs: 29
; NumVgprs: 52
; ScratchSize: 0
; MemoryBound: 0
; FloatMode: 240
; IeeeMode: 1
; LDSByteSize: 2048 bytes/workgroup (compile time only)
; SGPRBlocks: 0
; VGPRBlocks: 3
; NumSGPRsForWavesPerEU: 29
; NumVGPRsForWavesPerEU: 52
; NamedBarCnt: 0
; Occupancy: 16
; WaveLimiterHint : 1
; COMPUTE_PGM_RSRC2:SCRATCH_EN: 0
; COMPUTE_PGM_RSRC2:USER_SGPR: 2
; COMPUTE_PGM_RSRC2:TRAP_HANDLER: 0
; COMPUTE_PGM_RSRC2:TGID_X_EN: 1
; COMPUTE_PGM_RSRC2:TGID_Y_EN: 0
; COMPUTE_PGM_RSRC2:TGID_Z_EN: 0
; COMPUTE_PGM_RSRC2:TIDIG_COMP_CNT: 0
	.section	.text._ZN9rocsparseL29bsrmmnt_small_blockdim_kernelILj64ELj16ELj2Ell21rocsparse_complex_numIfES2_S2_S2_EEv20rocsparse_direction_T3_S4_llNS_24const_host_device_scalarIT7_EEPKT2_PKS4_PKT4_PKT5_llS7_PT6_ll16rocsparse_order_21rocsparse_index_base_b,"axG",@progbits,_ZN9rocsparseL29bsrmmnt_small_blockdim_kernelILj64ELj16ELj2Ell21rocsparse_complex_numIfES2_S2_S2_EEv20rocsparse_direction_T3_S4_llNS_24const_host_device_scalarIT7_EEPKT2_PKS4_PKT4_PKT5_llS7_PT6_ll16rocsparse_order_21rocsparse_index_base_b,comdat
	.globl	_ZN9rocsparseL29bsrmmnt_small_blockdim_kernelILj64ELj16ELj2Ell21rocsparse_complex_numIfES2_S2_S2_EEv20rocsparse_direction_T3_S4_llNS_24const_host_device_scalarIT7_EEPKT2_PKS4_PKT4_PKT5_llS7_PT6_ll16rocsparse_order_21rocsparse_index_base_b ; -- Begin function _ZN9rocsparseL29bsrmmnt_small_blockdim_kernelILj64ELj16ELj2Ell21rocsparse_complex_numIfES2_S2_S2_EEv20rocsparse_direction_T3_S4_llNS_24const_host_device_scalarIT7_EEPKT2_PKS4_PKT4_PKT5_llS7_PT6_ll16rocsparse_order_21rocsparse_index_base_b
	.p2align	8
	.type	_ZN9rocsparseL29bsrmmnt_small_blockdim_kernelILj64ELj16ELj2Ell21rocsparse_complex_numIfES2_S2_S2_EEv20rocsparse_direction_T3_S4_llNS_24const_host_device_scalarIT7_EEPKT2_PKS4_PKT4_PKT5_llS7_PT6_ll16rocsparse_order_21rocsparse_index_base_b,@function
_ZN9rocsparseL29bsrmmnt_small_blockdim_kernelILj64ELj16ELj2Ell21rocsparse_complex_numIfES2_S2_S2_EEv20rocsparse_direction_T3_S4_llNS_24const_host_device_scalarIT7_EEPKT2_PKS4_PKT4_PKT5_llS7_PT6_ll16rocsparse_order_21rocsparse_index_base_b: ; @_ZN9rocsparseL29bsrmmnt_small_blockdim_kernelILj64ELj16ELj2Ell21rocsparse_complex_numIfES2_S2_S2_EEv20rocsparse_direction_T3_S4_llNS_24const_host_device_scalarIT7_EEPKT2_PKS4_PKT4_PKT5_llS7_PT6_ll16rocsparse_order_21rocsparse_index_base_b
; %bb.0:
	s_clause 0x2
	s_load_b96 s[20:22], s[0:1], 0x80
	s_load_b64 s[2:3], s[0:1], 0x28
	s_load_b64 s[4:5], s[0:1], 0x60
	v_mov_b32_e32 v7, 0
	s_add_nc_u64 s[6:7], s[0:1], 40
	s_add_nc_u64 s[8:9], s[0:1], 0x60
	s_wait_kmcnt 0x0
	s_bitcmp1_b32 s22, 0
	s_cselect_b32 s3, s7, s3
	s_cselect_b32 s2, s6, s2
	;; [unrolled: 1-line block ×4, first 2 shown]
	s_clause 0x1
	flat_load_b64 v[2:3], v7, s[2:3]
	flat_load_b64 v[4:5], v7, s[4:5]
	s_wait_loadcnt_dscnt 0x101
	v_cmp_eq_f32_e32 vcc_lo, 0, v2
	v_cmp_eq_f32_e64 s3, 0, v3
	s_wait_loadcnt_dscnt 0x0
	v_cmp_eq_f32_e64 s4, 1.0, v4
	v_cmp_eq_f32_e64 s2, 0, v5
	s_and_b32 s3, vcc_lo, s3
	s_and_b32 s4, s4, s2
	s_delay_alu instid0(SALU_CYCLE_1) | instskip(NEXT) | instid1(SALU_CYCLE_1)
	s_and_b32 s3, s3, s4
	s_xor_b32 s3, s3, -1
	s_delay_alu instid0(SALU_CYCLE_1)
	s_and_saveexec_b32 s4, s3
	s_cbranch_execz .LBB54_27
; %bb.1:
	s_clause 0x1
	s_load_b32 s3, s[0:1], 0x9c
	s_load_b128 s[12:15], s[0:1], 0x8
	s_bfe_u32 s4, ttmp6, 0x4000c
	s_and_b32 s5, ttmp6, 15
	s_add_co_i32 s4, s4, 1
	s_getreg_b32 s6, hwreg(HW_REG_IB_STS2, 6, 4)
	s_mul_i32 s4, ttmp9, s4
	s_delay_alu instid0(SALU_CYCLE_1) | instskip(SKIP_4) | instid1(SALU_CYCLE_1)
	s_add_co_i32 s5, s5, s4
	s_wait_kmcnt 0x0
	s_and_b32 s3, s3, 0xffff
	s_cmp_eq_u32 s6, 0
	s_cselect_b32 s4, ttmp9, s5
	v_mad_u32 v1, s4, s3, v0
	s_delay_alu instid0(VALU_DEP_1) | instskip(NEXT) | instid1(VALU_DEP_1)
	v_lshrrev_b32_e32 v6, 5, v1
	v_cmp_gt_i64_e32 vcc_lo, s[12:13], v[6:7]
	s_and_b32 exec_lo, exec_lo, vcc_lo
	s_cbranch_execz .LBB54_27
; %bb.2:
	v_cmp_lt_i64_e64 s3, s[14:15], 1
	s_and_b32 vcc_lo, exec_lo, s3
	s_cbranch_vccnz .LBB54_27
; %bb.3:
	s_load_b256 s[4:11], s[0:1], 0x30
	v_dual_lshlrev_b32 v6, 3, v6 :: v_dual_lshrrev_b32 v10, 4, v1
	s_clause 0x1
	s_load_b128 s[16:19], s[0:1], 0x68
	s_load_b64 s[12:13], s[0:1], 0x50
	v_mov_b32_e32 v11, 0
	s_wait_xcnt 0x0
	s_load_b32 s0, s[0:1], 0x0
	v_lshrrev_b32_e32 v18, 4, v0
	v_cmp_neq_f32_e32 vcc_lo, 0, v4
	s_wait_xcnt 0x0
	s_xor_b32 s1, s2, -1
	v_xor_b32_e32 v8, 0x80000000, v5
	v_dual_mov_b32 v1, v2 :: v_dual_mov_b32 v9, v4
	s_or_b32 s22, vcc_lo, s1
	s_cmp_lg_u32 s20, 1
	s_cselect_b32 s23, -1, 0
	s_wait_kmcnt 0x0
	global_load_b128 v[20:23], v6, s[4:5]
	s_wait_xcnt 0x0
	v_and_b32_e32 v6, 15, v0
	s_mov_b32 s5, 0
	v_mul_u64_e32 v[14:15], s[18:19], v[10:11]
	v_dual_mov_b32 v13, v11 :: v_dual_lshlrev_b32 v10, 3, v10
	s_cmp_eq_u32 s0, 0
	v_lshl_or_b32 v36, v18, 7, 0x600
	v_mul_u32_u24_e32 v37, 0x180, v18
	s_delay_alu instid0(VALU_DEP_3)
	v_and_b32_e32 v12, 8, v10
	v_mul_u32_u24_e32 v24, 24, v6
	s_cselect_b32 vcc_lo, -1, 0
	s_mov_b32 s4, s21
	s_and_b32 s0, vcc_lo, exec_lo
	v_add_nc_u64_e32 v[16:17], s[8:9], v[12:13]
	v_xor_b32_e32 v0, 0x80000000, v3
	v_lshl_or_b32 v38, v6, 3, v36
	v_add_nc_u32_e32 v39, v37, v24
	s_mov_b32 s3, s5
	s_cselect_b32 s2, 12, 20
	s_cselect_b32 s8, 8, 16
	v_add_nc_u64_e32 v[12:13], v[16:17], v[12:13]
	v_mov_b32_e32 v7, v11
	v_add_nc_u64_e32 v[10:11], s[16:17], v[10:11]
	s_mov_b32 s9, s5
	s_lshl_b64 s[20:21], s[12:13], 3
	s_delay_alu instid0(VALU_DEP_3)
	v_dual_cndmask_b32 v13, v17, v13 :: v_dual_cndmask_b32 v12, v16, v12
	v_lshl_add_u64 v[14:15], v[14:15], 3, s[16:17]
	s_mov_b64 s[16:17], 0
	s_wait_loadcnt 0x0
	v_sub_nc_u64_e64 v[16:17], v[20:21], s[4:5]
	v_sub_nc_u64_e64 v[18:19], v[22:23], s[4:5]
	v_cmp_lt_i64_e64 s0, v[20:21], v[22:23]
	v_mov_b64_e32 v[20:21], 0
	s_branch .LBB54_5
.LBB54_4:                               ;   in Loop: Header=BB54_5 Depth=1
	s_wait_xcnt 0x0
	s_or_b32 exec_lo, exec_lo, s1
	s_add_nc_u64 s[16:17], s[16:17], 16
	s_delay_alu instid0(SALU_CYCLE_1)
	v_cmp_lt_i64_e64 s1, s[16:17], s[14:15]
	s_and_b32 vcc_lo, exec_lo, s1
	s_cbranch_vccz .LBB54_27
.LBB54_5:                               ; =>This Loop Header: Depth=1
                                        ;     Child Loop BB54_8 Depth 2
                                        ;       Child Loop BB54_14 Depth 3
	v_mov_b64_e32 v[24:25], 0
	v_dual_mov_b32 v23, s17 :: v_dual_bitop2_b32 v22, s16, v6 bitop3:0x54
	s_delay_alu instid0(VALU_DEP_4)
	s_and_saveexec_b32 s24, s0
	s_cbranch_execz .LBB54_16
; %bb.6:                                ;   in Loop: Header=BB54_5 Depth=1
	v_mov_b64_e32 v[24:25], 0
	v_mov_b64_e32 v[28:29], v[16:17]
	v_lshl_add_u64 v[26:27], v[22:23], 3, s[10:11]
	s_mov_b32 s25, 0
	v_cmp_gt_i64_e32 vcc_lo, s[14:15], v[22:23]
	s_branch .LBB54_8
.LBB54_7:                               ;   in Loop: Header=BB54_8 Depth=2
	s_or_b32 exec_lo, exec_lo, s1
	v_add_nc_u64_e32 v[28:29], 16, v[28:29]
	s_delay_alu instid0(VALU_DEP_1) | instskip(SKIP_1) | instid1(SALU_CYCLE_1)
	v_cmp_ge_i64_e64 s1, v[28:29], v[18:19]
	s_or_b32 s25, s1, s25
	s_and_not1_b32 exec_lo, exec_lo, s25
	s_cbranch_execz .LBB54_15
.LBB54_8:                               ;   Parent Loop BB54_5 Depth=1
                                        ; =>  This Loop Header: Depth=2
                                        ;       Child Loop BB54_14 Depth 3
	s_delay_alu instid0(VALU_DEP_3) | instskip(NEXT) | instid1(VALU_DEP_1)
	v_add_nc_u64_e32 v[34:35], v[28:29], v[6:7]
	v_cmp_ge_i64_e64 s1, v[34:35], v[18:19]
	s_and_saveexec_b32 s26, s1
	s_delay_alu instid0(SALU_CYCLE_1)
	s_xor_b32 s1, exec_lo, s26
; %bb.9:                                ;   in Loop: Header=BB54_8 Depth=2
	ds_store_b64 v38, v[20:21]
                                        ; implicit-def: $vgpr34_vgpr35
; %bb.10:                               ;   in Loop: Header=BB54_8 Depth=2
	s_or_saveexec_b32 s1, s1
	v_dual_mov_b32 v30, 0 :: v_dual_mov_b32 v31, 0
	v_dual_mov_b32 v32, 0 :: v_dual_mov_b32 v33, 0
	s_xor_b32 exec_lo, exec_lo, s1
	s_cbranch_execz .LBB54_12
; %bb.11:                               ;   in Loop: Header=BB54_8 Depth=2
	v_lshlrev_b64_e32 v[30:31], 5, v[34:35]
	v_lshl_add_u64 v[32:33], v[34:35], 3, s[6:7]
	global_load_b64 v[34:35], v[32:33], off
	v_add_nc_u64_e32 v[40:41], v[12:13], v[30:31]
	s_delay_alu instid0(VALU_DEP_1)
	v_add_nc_u64_e32 v[42:43], s[8:9], v[40:41]
	v_add_nc_u64_e32 v[44:45], s[2:3], v[40:41]
	s_clause 0x2
	global_load_b64 v[30:31], v[40:41], off
	global_load_b32 v32, v[42:43], off
	global_load_b32 v33, v[44:45], off
	s_wait_loadcnt 0x3
	v_sub_nc_u64_e64 v[34:35], v[34:35], s[4:5]
	s_delay_alu instid0(VALU_DEP_1)
	v_lshlrev_b64_e32 v[34:35], 1, v[34:35]
	ds_store_b64 v38, v[34:35]
.LBB54_12:                              ;   in Loop: Header=BB54_8 Depth=2
	s_wait_xcnt 0x0
	s_or_b32 exec_lo, exec_lo, s1
	s_wait_loadcnt 0x0
	ds_store_2addr_b64 v39, v[30:31], v[32:33] offset1:1
	s_wait_dscnt 0x0
	s_barrier_signal -1
	s_barrier_wait -1
	s_and_saveexec_b32 s1, vcc_lo
	s_cbranch_execz .LBB54_7
; %bb.13:                               ;   in Loop: Header=BB54_8 Depth=2
	v_mov_b32_e32 v30, v37
	s_mov_b32 s26, 0
.LBB54_14:                              ;   Parent Loop BB54_5 Depth=1
                                        ;     Parent Loop BB54_8 Depth=2
                                        ; =>    This Inner Loop Header: Depth=3
	s_delay_alu instid0(SALU_CYCLE_1) | instskip(SKIP_1) | instid1(SALU_CYCLE_1)
	v_add_nc_u32_e32 v31, s26, v36
	s_add_co_i32 s26, s26, 16
	s_cmp_lg_u32 s26, 0x80
	ds_load_b128 v[32:35], v31
	s_wait_dscnt 0x0
	v_mul_u64_e32 v[32:33], s[12:13], v[32:33]
	v_mul_u64_e32 v[34:35], s[12:13], v[34:35]
	s_delay_alu instid0(VALU_DEP_2)
	v_lshl_add_u64 v[32:33], v[32:33], 3, v[26:27]
	global_load_b64 v[44:45], v[32:33], off
	s_wait_xcnt 0x0
	v_add_nc_u64_e32 v[32:33], s[20:21], v[32:33]
	global_load_b64 v[46:47], v[32:33], off
	s_wait_xcnt 0x0
	v_lshl_add_u64 v[32:33], v[34:35], 3, v[26:27]
	global_load_b64 v[48:49], v[32:33], off
	s_wait_xcnt 0x0
	v_add_nc_u64_e32 v[32:33], s[20:21], v[32:33]
	global_load_b64 v[50:51], v[32:33], off
	s_wait_xcnt 0x0
	ds_load_b128 v[32:35], v30
	ds_load_2addr_b64 v[40:43], v30 offset0:3 offset1:4
	v_add_nc_u32_e32 v30, 48, v30
	s_wait_loadcnt_dscnt 0x301
	v_pk_fma_f32 v[24:25], v[32:33], v[44:45], v[24:25] op_sel_hi:[1,0,1]
	s_delay_alu instid0(VALU_DEP_1) | instskip(SKIP_3) | instid1(VALU_DEP_3)
	v_pk_fma_f32 v[24:25], v[32:33], v[44:45], v[24:25] op_sel:[1,1,0] op_sel_hi:[0,1,1] neg_lo:[1,0,0]
	v_xor_b32_e32 v32, 0x80000000, v35
	v_mov_b32_e32 v33, v34
	s_wait_loadcnt 0x2
	v_pk_fma_f32 v[24:25], v[34:35], v[46:47], v[24:25] op_sel_hi:[1,0,1]
	s_delay_alu instid0(VALU_DEP_1)
	v_pk_fma_f32 v[24:25], v[32:33], v[46:47], v[24:25] op_sel:[0,1,0]
	s_wait_dscnt 0x0
	v_xor_b32_e32 v32, 0x80000000, v43
	v_mov_b32_e32 v33, v42
	s_wait_loadcnt 0x1
	v_pk_fma_f32 v[24:25], v[40:41], v[48:49], v[24:25] op_sel_hi:[1,0,1]
	s_delay_alu instid0(VALU_DEP_1) | instskip(SKIP_1) | instid1(VALU_DEP_1)
	v_pk_fma_f32 v[24:25], v[40:41], v[48:49], v[24:25] op_sel:[1,1,0] op_sel_hi:[0,1,1] neg_lo:[1,0,0]
	s_wait_loadcnt 0x0
	v_pk_fma_f32 v[24:25], v[42:43], v[50:51], v[24:25] op_sel_hi:[1,0,1]
	s_delay_alu instid0(VALU_DEP_1)
	v_pk_fma_f32 v[24:25], v[32:33], v[50:51], v[24:25] op_sel:[0,1,0]
	s_cbranch_scc1 .LBB54_14
	s_branch .LBB54_7
.LBB54_15:                              ;   in Loop: Header=BB54_5 Depth=1
	s_or_b32 exec_lo, exec_lo, s25
.LBB54_16:                              ;   in Loop: Header=BB54_5 Depth=1
	s_delay_alu instid0(SALU_CYCLE_1) | instskip(NEXT) | instid1(SALU_CYCLE_1)
	s_or_b32 exec_lo, exec_lo, s24
	s_mov_b32 s1, exec_lo
	v_cmpx_gt_i64_e64 s[14:15], v[22:23]
	s_cbranch_execz .LBB54_4
; %bb.17:                               ;   in Loop: Header=BB54_5 Depth=1
	s_and_saveexec_b32 s24, s22
	s_delay_alu instid0(SALU_CYCLE_1)
	s_xor_b32 s24, exec_lo, s24
	s_cbranch_execz .LBB54_22
; %bb.18:                               ;   in Loop: Header=BB54_5 Depth=1
	s_and_b32 vcc_lo, exec_lo, s23
	s_mov_b32 s25, -1
	s_cbranch_vccz .LBB54_20
; %bb.19:                               ;   in Loop: Header=BB54_5 Depth=1
	v_lshl_add_u64 v[26:27], v[22:23], 3, v[14:15]
	v_pk_mul_f32 v[30:31], v[24:25], v[0:1] op_sel:[1,0]
	s_mov_b32 s25, 0
	global_load_b64 v[28:29], v[26:27], off
	v_pk_fma_f32 v[30:31], v[2:3], v[24:25], v[30:31] op_sel_hi:[1,0,1]
	s_wait_loadcnt 0x0
	s_delay_alu instid0(VALU_DEP_1) | instskip(NEXT) | instid1(VALU_DEP_1)
	v_pk_fma_f32 v[30:31], v[4:5], v[28:29], v[30:31] op_sel_hi:[1,0,1]
	v_pk_fma_f32 v[28:29], v[8:9], v[28:29], v[30:31] op_sel:[0,1,0]
	global_store_b64 v[26:27], v[28:29], off
.LBB54_20:                              ;   in Loop: Header=BB54_5 Depth=1
	s_and_not1_b32 vcc_lo, exec_lo, s25
	s_cbranch_vccnz .LBB54_22
; %bb.21:                               ;   in Loop: Header=BB54_5 Depth=1
	v_mul_u64_e32 v[22:23], s[18:19], v[22:23]
	s_wait_xcnt 0x0
	v_pk_mul_f32 v[28:29], v[24:25], v[0:1] op_sel:[1,0]
	s_delay_alu instid0(VALU_DEP_1) | instskip(NEXT) | instid1(VALU_DEP_3)
	v_pk_fma_f32 v[24:25], v[2:3], v[24:25], v[28:29] op_sel_hi:[1,0,1]
	v_lshl_add_u64 v[22:23], v[22:23], 3, v[10:11]
	global_load_b64 v[26:27], v[22:23], off
	s_wait_loadcnt 0x0
	v_pk_fma_f32 v[24:25], v[4:5], v[26:27], v[24:25] op_sel_hi:[1,0,1]
	s_delay_alu instid0(VALU_DEP_1)
	v_pk_fma_f32 v[24:25], v[8:9], v[26:27], v[24:25] op_sel:[0,1,0]
	global_store_b64 v[22:23], v[24:25], off
                                        ; implicit-def: $vgpr22_vgpr23
                                        ; implicit-def: $vgpr24_vgpr25
.LBB54_22:                              ;   in Loop: Header=BB54_5 Depth=1
	s_wait_xcnt 0x0
	s_and_not1_saveexec_b32 s24, s24
	s_cbranch_execz .LBB54_4
; %bb.23:                               ;   in Loop: Header=BB54_5 Depth=1
	v_pk_mul_f32 v[26:27], v[24:25], v[0:1] op_sel:[1,0]
	s_and_b32 vcc_lo, exec_lo, s23
	s_mov_b32 s24, -1
	s_delay_alu instid0(VALU_DEP_1)
	v_pk_fma_f32 v[24:25], v[2:3], v[24:25], v[26:27] op_sel_hi:[1,0,1]
	s_cbranch_vccz .LBB54_25
; %bb.24:                               ;   in Loop: Header=BB54_5 Depth=1
	v_lshl_add_u64 v[26:27], v[22:23], 3, v[14:15]
	s_mov_b32 s24, 0
	global_store_b64 v[26:27], v[24:25], off
.LBB54_25:                              ;   in Loop: Header=BB54_5 Depth=1
	s_and_not1_b32 vcc_lo, exec_lo, s24
	s_cbranch_vccnz .LBB54_4
; %bb.26:                               ;   in Loop: Header=BB54_5 Depth=1
	v_mul_u64_e32 v[22:23], s[18:19], v[22:23]
	s_delay_alu instid0(VALU_DEP_1)
	v_lshl_add_u64 v[22:23], v[22:23], 3, v[10:11]
	global_store_b64 v[22:23], v[24:25], off
	s_branch .LBB54_4
.LBB54_27:
	s_endpgm
	.section	.rodata,"a",@progbits
	.p2align	6, 0x0
	.amdhsa_kernel _ZN9rocsparseL29bsrmmnt_small_blockdim_kernelILj64ELj16ELj2Ell21rocsparse_complex_numIfES2_S2_S2_EEv20rocsparse_direction_T3_S4_llNS_24const_host_device_scalarIT7_EEPKT2_PKS4_PKT4_PKT5_llS7_PT6_ll16rocsparse_order_21rocsparse_index_base_b
		.amdhsa_group_segment_fixed_size 2048
		.amdhsa_private_segment_fixed_size 0
		.amdhsa_kernarg_size 400
		.amdhsa_user_sgpr_count 2
		.amdhsa_user_sgpr_dispatch_ptr 0
		.amdhsa_user_sgpr_queue_ptr 0
		.amdhsa_user_sgpr_kernarg_segment_ptr 1
		.amdhsa_user_sgpr_dispatch_id 0
		.amdhsa_user_sgpr_kernarg_preload_length 0
		.amdhsa_user_sgpr_kernarg_preload_offset 0
		.amdhsa_user_sgpr_private_segment_size 0
		.amdhsa_wavefront_size32 1
		.amdhsa_uses_dynamic_stack 0
		.amdhsa_enable_private_segment 0
		.amdhsa_system_sgpr_workgroup_id_x 1
		.amdhsa_system_sgpr_workgroup_id_y 0
		.amdhsa_system_sgpr_workgroup_id_z 0
		.amdhsa_system_sgpr_workgroup_info 0
		.amdhsa_system_vgpr_workitem_id 0
		.amdhsa_next_free_vgpr 52
		.amdhsa_next_free_sgpr 27
		.amdhsa_named_barrier_count 0
		.amdhsa_reserve_vcc 1
		.amdhsa_float_round_mode_32 0
		.amdhsa_float_round_mode_16_64 0
		.amdhsa_float_denorm_mode_32 3
		.amdhsa_float_denorm_mode_16_64 3
		.amdhsa_fp16_overflow 0
		.amdhsa_memory_ordered 1
		.amdhsa_forward_progress 1
		.amdhsa_inst_pref_size 13
		.amdhsa_round_robin_scheduling 0
		.amdhsa_exception_fp_ieee_invalid_op 0
		.amdhsa_exception_fp_denorm_src 0
		.amdhsa_exception_fp_ieee_div_zero 0
		.amdhsa_exception_fp_ieee_overflow 0
		.amdhsa_exception_fp_ieee_underflow 0
		.amdhsa_exception_fp_ieee_inexact 0
		.amdhsa_exception_int_div_zero 0
	.end_amdhsa_kernel
	.section	.text._ZN9rocsparseL29bsrmmnt_small_blockdim_kernelILj64ELj16ELj2Ell21rocsparse_complex_numIfES2_S2_S2_EEv20rocsparse_direction_T3_S4_llNS_24const_host_device_scalarIT7_EEPKT2_PKS4_PKT4_PKT5_llS7_PT6_ll16rocsparse_order_21rocsparse_index_base_b,"axG",@progbits,_ZN9rocsparseL29bsrmmnt_small_blockdim_kernelILj64ELj16ELj2Ell21rocsparse_complex_numIfES2_S2_S2_EEv20rocsparse_direction_T3_S4_llNS_24const_host_device_scalarIT7_EEPKT2_PKS4_PKT4_PKT5_llS7_PT6_ll16rocsparse_order_21rocsparse_index_base_b,comdat
.Lfunc_end54:
	.size	_ZN9rocsparseL29bsrmmnt_small_blockdim_kernelILj64ELj16ELj2Ell21rocsparse_complex_numIfES2_S2_S2_EEv20rocsparse_direction_T3_S4_llNS_24const_host_device_scalarIT7_EEPKT2_PKS4_PKT4_PKT5_llS7_PT6_ll16rocsparse_order_21rocsparse_index_base_b, .Lfunc_end54-_ZN9rocsparseL29bsrmmnt_small_blockdim_kernelILj64ELj16ELj2Ell21rocsparse_complex_numIfES2_S2_S2_EEv20rocsparse_direction_T3_S4_llNS_24const_host_device_scalarIT7_EEPKT2_PKS4_PKT4_PKT5_llS7_PT6_ll16rocsparse_order_21rocsparse_index_base_b
                                        ; -- End function
	.set _ZN9rocsparseL29bsrmmnt_small_blockdim_kernelILj64ELj16ELj2Ell21rocsparse_complex_numIfES2_S2_S2_EEv20rocsparse_direction_T3_S4_llNS_24const_host_device_scalarIT7_EEPKT2_PKS4_PKT4_PKT5_llS7_PT6_ll16rocsparse_order_21rocsparse_index_base_b.num_vgpr, 52
	.set _ZN9rocsparseL29bsrmmnt_small_blockdim_kernelILj64ELj16ELj2Ell21rocsparse_complex_numIfES2_S2_S2_EEv20rocsparse_direction_T3_S4_llNS_24const_host_device_scalarIT7_EEPKT2_PKS4_PKT4_PKT5_llS7_PT6_ll16rocsparse_order_21rocsparse_index_base_b.num_agpr, 0
	.set _ZN9rocsparseL29bsrmmnt_small_blockdim_kernelILj64ELj16ELj2Ell21rocsparse_complex_numIfES2_S2_S2_EEv20rocsparse_direction_T3_S4_llNS_24const_host_device_scalarIT7_EEPKT2_PKS4_PKT4_PKT5_llS7_PT6_ll16rocsparse_order_21rocsparse_index_base_b.numbered_sgpr, 27
	.set _ZN9rocsparseL29bsrmmnt_small_blockdim_kernelILj64ELj16ELj2Ell21rocsparse_complex_numIfES2_S2_S2_EEv20rocsparse_direction_T3_S4_llNS_24const_host_device_scalarIT7_EEPKT2_PKS4_PKT4_PKT5_llS7_PT6_ll16rocsparse_order_21rocsparse_index_base_b.num_named_barrier, 0
	.set _ZN9rocsparseL29bsrmmnt_small_blockdim_kernelILj64ELj16ELj2Ell21rocsparse_complex_numIfES2_S2_S2_EEv20rocsparse_direction_T3_S4_llNS_24const_host_device_scalarIT7_EEPKT2_PKS4_PKT4_PKT5_llS7_PT6_ll16rocsparse_order_21rocsparse_index_base_b.private_seg_size, 0
	.set _ZN9rocsparseL29bsrmmnt_small_blockdim_kernelILj64ELj16ELj2Ell21rocsparse_complex_numIfES2_S2_S2_EEv20rocsparse_direction_T3_S4_llNS_24const_host_device_scalarIT7_EEPKT2_PKS4_PKT4_PKT5_llS7_PT6_ll16rocsparse_order_21rocsparse_index_base_b.uses_vcc, 1
	.set _ZN9rocsparseL29bsrmmnt_small_blockdim_kernelILj64ELj16ELj2Ell21rocsparse_complex_numIfES2_S2_S2_EEv20rocsparse_direction_T3_S4_llNS_24const_host_device_scalarIT7_EEPKT2_PKS4_PKT4_PKT5_llS7_PT6_ll16rocsparse_order_21rocsparse_index_base_b.uses_flat_scratch, 1
	.set _ZN9rocsparseL29bsrmmnt_small_blockdim_kernelILj64ELj16ELj2Ell21rocsparse_complex_numIfES2_S2_S2_EEv20rocsparse_direction_T3_S4_llNS_24const_host_device_scalarIT7_EEPKT2_PKS4_PKT4_PKT5_llS7_PT6_ll16rocsparse_order_21rocsparse_index_base_b.has_dyn_sized_stack, 0
	.set _ZN9rocsparseL29bsrmmnt_small_blockdim_kernelILj64ELj16ELj2Ell21rocsparse_complex_numIfES2_S2_S2_EEv20rocsparse_direction_T3_S4_llNS_24const_host_device_scalarIT7_EEPKT2_PKS4_PKT4_PKT5_llS7_PT6_ll16rocsparse_order_21rocsparse_index_base_b.has_recursion, 0
	.set _ZN9rocsparseL29bsrmmnt_small_blockdim_kernelILj64ELj16ELj2Ell21rocsparse_complex_numIfES2_S2_S2_EEv20rocsparse_direction_T3_S4_llNS_24const_host_device_scalarIT7_EEPKT2_PKS4_PKT4_PKT5_llS7_PT6_ll16rocsparse_order_21rocsparse_index_base_b.has_indirect_call, 0
	.section	.AMDGPU.csdata,"",@progbits
; Kernel info:
; codeLenInByte = 1548
; TotalNumSgprs: 29
; NumVgprs: 52
; ScratchSize: 0
; MemoryBound: 0
; FloatMode: 240
; IeeeMode: 1
; LDSByteSize: 2048 bytes/workgroup (compile time only)
; SGPRBlocks: 0
; VGPRBlocks: 3
; NumSGPRsForWavesPerEU: 29
; NumVGPRsForWavesPerEU: 52
; NamedBarCnt: 0
; Occupancy: 16
; WaveLimiterHint : 1
; COMPUTE_PGM_RSRC2:SCRATCH_EN: 0
; COMPUTE_PGM_RSRC2:USER_SGPR: 2
; COMPUTE_PGM_RSRC2:TRAP_HANDLER: 0
; COMPUTE_PGM_RSRC2:TGID_X_EN: 1
; COMPUTE_PGM_RSRC2:TGID_Y_EN: 0
; COMPUTE_PGM_RSRC2:TGID_Z_EN: 0
; COMPUTE_PGM_RSRC2:TIDIG_COMP_CNT: 0
	.section	.text._ZN9rocsparseL29bsrmmnt_small_blockdim_kernelILj64ELj32ELj2Ell21rocsparse_complex_numIfES2_S2_S2_EEv20rocsparse_direction_T3_S4_llNS_24const_host_device_scalarIT7_EEPKT2_PKS4_PKT4_PKT5_llS7_PT6_ll16rocsparse_order_21rocsparse_index_base_b,"axG",@progbits,_ZN9rocsparseL29bsrmmnt_small_blockdim_kernelILj64ELj32ELj2Ell21rocsparse_complex_numIfES2_S2_S2_EEv20rocsparse_direction_T3_S4_llNS_24const_host_device_scalarIT7_EEPKT2_PKS4_PKT4_PKT5_llS7_PT6_ll16rocsparse_order_21rocsparse_index_base_b,comdat
	.globl	_ZN9rocsparseL29bsrmmnt_small_blockdim_kernelILj64ELj32ELj2Ell21rocsparse_complex_numIfES2_S2_S2_EEv20rocsparse_direction_T3_S4_llNS_24const_host_device_scalarIT7_EEPKT2_PKS4_PKT4_PKT5_llS7_PT6_ll16rocsparse_order_21rocsparse_index_base_b ; -- Begin function _ZN9rocsparseL29bsrmmnt_small_blockdim_kernelILj64ELj32ELj2Ell21rocsparse_complex_numIfES2_S2_S2_EEv20rocsparse_direction_T3_S4_llNS_24const_host_device_scalarIT7_EEPKT2_PKS4_PKT4_PKT5_llS7_PT6_ll16rocsparse_order_21rocsparse_index_base_b
	.p2align	8
	.type	_ZN9rocsparseL29bsrmmnt_small_blockdim_kernelILj64ELj32ELj2Ell21rocsparse_complex_numIfES2_S2_S2_EEv20rocsparse_direction_T3_S4_llNS_24const_host_device_scalarIT7_EEPKT2_PKS4_PKT4_PKT5_llS7_PT6_ll16rocsparse_order_21rocsparse_index_base_b,@function
_ZN9rocsparseL29bsrmmnt_small_blockdim_kernelILj64ELj32ELj2Ell21rocsparse_complex_numIfES2_S2_S2_EEv20rocsparse_direction_T3_S4_llNS_24const_host_device_scalarIT7_EEPKT2_PKS4_PKT4_PKT5_llS7_PT6_ll16rocsparse_order_21rocsparse_index_base_b: ; @_ZN9rocsparseL29bsrmmnt_small_blockdim_kernelILj64ELj32ELj2Ell21rocsparse_complex_numIfES2_S2_S2_EEv20rocsparse_direction_T3_S4_llNS_24const_host_device_scalarIT7_EEPKT2_PKS4_PKT4_PKT5_llS7_PT6_ll16rocsparse_order_21rocsparse_index_base_b
; %bb.0:
	s_clause 0x2
	s_load_b96 s[20:22], s[0:1], 0x80
	s_load_b64 s[2:3], s[0:1], 0x28
	s_load_b64 s[4:5], s[0:1], 0x60
	v_mov_b32_e32 v7, 0
	s_add_nc_u64 s[6:7], s[0:1], 40
	s_add_nc_u64 s[8:9], s[0:1], 0x60
	s_wait_kmcnt 0x0
	s_bitcmp1_b32 s22, 0
	s_cselect_b32 s3, s7, s3
	s_cselect_b32 s2, s6, s2
	;; [unrolled: 1-line block ×4, first 2 shown]
	s_clause 0x1
	flat_load_b64 v[2:3], v7, s[2:3]
	flat_load_b64 v[4:5], v7, s[4:5]
	s_wait_loadcnt_dscnt 0x101
	v_cmp_eq_f32_e32 vcc_lo, 0, v2
	v_cmp_eq_f32_e64 s3, 0, v3
	s_wait_loadcnt_dscnt 0x0
	v_cmp_eq_f32_e64 s4, 1.0, v4
	v_cmp_eq_f32_e64 s2, 0, v5
	s_and_b32 s3, vcc_lo, s3
	s_and_b32 s4, s4, s2
	s_delay_alu instid0(SALU_CYCLE_1) | instskip(NEXT) | instid1(SALU_CYCLE_1)
	s_and_b32 s3, s3, s4
	s_xor_b32 s3, s3, -1
	s_delay_alu instid0(SALU_CYCLE_1)
	s_and_saveexec_b32 s4, s3
	s_cbranch_execz .LBB55_27
; %bb.1:
	s_clause 0x1
	s_load_b32 s3, s[0:1], 0x9c
	s_load_b128 s[12:15], s[0:1], 0x8
	s_bfe_u32 s4, ttmp6, 0x4000c
	s_and_b32 s5, ttmp6, 15
	s_add_co_i32 s4, s4, 1
	s_getreg_b32 s6, hwreg(HW_REG_IB_STS2, 6, 4)
	s_mul_i32 s4, ttmp9, s4
	s_delay_alu instid0(SALU_CYCLE_1) | instskip(SKIP_4) | instid1(SALU_CYCLE_1)
	s_add_co_i32 s5, s5, s4
	s_wait_kmcnt 0x0
	s_and_b32 s3, s3, 0xffff
	s_cmp_eq_u32 s6, 0
	s_cselect_b32 s4, ttmp9, s5
	v_mad_u32 v1, s4, s3, v0
	s_delay_alu instid0(VALU_DEP_1) | instskip(NEXT) | instid1(VALU_DEP_1)
	v_lshrrev_b32_e32 v6, 6, v1
	v_cmp_gt_i64_e32 vcc_lo, s[12:13], v[6:7]
	s_and_b32 exec_lo, exec_lo, vcc_lo
	s_cbranch_execz .LBB55_27
; %bb.2:
	v_cmp_lt_i64_e64 s3, s[14:15], 1
	s_and_b32 vcc_lo, exec_lo, s3
	s_cbranch_vccnz .LBB55_27
; %bb.3:
	s_load_b256 s[4:11], s[0:1], 0x30
	v_dual_lshlrev_b32 v6, 3, v6 :: v_dual_lshrrev_b32 v10, 5, v1
	s_clause 0x1
	s_load_b128 s[16:19], s[0:1], 0x68
	s_load_b64 s[12:13], s[0:1], 0x50
	v_mov_b32_e32 v11, 0
	s_wait_xcnt 0x0
	s_load_b32 s0, s[0:1], 0x0
	v_lshrrev_b32_e32 v18, 5, v0
	v_cmp_neq_f32_e32 vcc_lo, 0, v4
	s_wait_xcnt 0x0
	s_xor_b32 s1, s2, -1
	v_xor_b32_e32 v8, 0x80000000, v5
	v_dual_mov_b32 v1, v2 :: v_dual_mov_b32 v9, v4
	s_or_b32 s22, vcc_lo, s1
	s_cmp_lg_u32 s20, 1
	s_cselect_b32 s23, -1, 0
	s_wait_kmcnt 0x0
	global_load_b128 v[20:23], v6, s[4:5]
	s_wait_xcnt 0x0
	v_and_b32_e32 v6, 31, v0
	s_mov_b32 s5, 0
	v_mul_u64_e32 v[14:15], s[18:19], v[10:11]
	v_dual_mov_b32 v13, v11 :: v_dual_lshlrev_b32 v10, 3, v10
	s_cmp_eq_u32 s0, 0
	v_lshl_or_b32 v36, v18, 8, 0x600
	v_mul_u32_u24_e32 v37, 0x300, v18
	s_delay_alu instid0(VALU_DEP_3)
	v_and_b32_e32 v12, 8, v10
	v_mul_u32_u24_e32 v24, 24, v6
	s_cselect_b32 vcc_lo, -1, 0
	s_mov_b32 s4, s21
	s_and_b32 s0, vcc_lo, exec_lo
	v_add_nc_u64_e32 v[16:17], s[8:9], v[12:13]
	v_xor_b32_e32 v0, 0x80000000, v3
	v_lshl_or_b32 v38, v6, 3, v36
	v_add_nc_u32_e32 v39, v37, v24
	s_mov_b32 s3, s5
	s_cselect_b32 s2, 12, 20
	s_cselect_b32 s8, 8, 16
	v_add_nc_u64_e32 v[12:13], v[16:17], v[12:13]
	v_mov_b32_e32 v7, v11
	v_add_nc_u64_e32 v[10:11], s[16:17], v[10:11]
	s_mov_b32 s9, s5
	s_lshl_b64 s[20:21], s[12:13], 3
	s_delay_alu instid0(VALU_DEP_3)
	v_dual_cndmask_b32 v13, v17, v13 :: v_dual_cndmask_b32 v12, v16, v12
	v_lshl_add_u64 v[14:15], v[14:15], 3, s[16:17]
	s_mov_b64 s[16:17], 0
	s_wait_loadcnt 0x0
	v_sub_nc_u64_e64 v[16:17], v[20:21], s[4:5]
	v_sub_nc_u64_e64 v[18:19], v[22:23], s[4:5]
	v_cmp_lt_i64_e64 s0, v[20:21], v[22:23]
	v_mov_b64_e32 v[20:21], 0
	s_branch .LBB55_5
.LBB55_4:                               ;   in Loop: Header=BB55_5 Depth=1
	s_wait_xcnt 0x0
	s_or_b32 exec_lo, exec_lo, s1
	s_add_nc_u64 s[16:17], s[16:17], 32
	s_delay_alu instid0(SALU_CYCLE_1)
	v_cmp_lt_i64_e64 s1, s[16:17], s[14:15]
	s_and_b32 vcc_lo, exec_lo, s1
	s_cbranch_vccz .LBB55_27
.LBB55_5:                               ; =>This Loop Header: Depth=1
                                        ;     Child Loop BB55_8 Depth 2
                                        ;       Child Loop BB55_14 Depth 3
	v_mov_b64_e32 v[24:25], 0
	v_dual_mov_b32 v23, s17 :: v_dual_bitop2_b32 v22, s16, v6 bitop3:0x54
	s_delay_alu instid0(VALU_DEP_4)
	s_and_saveexec_b32 s24, s0
	s_cbranch_execz .LBB55_16
; %bb.6:                                ;   in Loop: Header=BB55_5 Depth=1
	v_mov_b64_e32 v[24:25], 0
	v_mov_b64_e32 v[28:29], v[16:17]
	v_lshl_add_u64 v[26:27], v[22:23], 3, s[10:11]
	s_mov_b32 s25, 0
	v_cmp_gt_i64_e32 vcc_lo, s[14:15], v[22:23]
	s_branch .LBB55_8
.LBB55_7:                               ;   in Loop: Header=BB55_8 Depth=2
	s_or_b32 exec_lo, exec_lo, s1
	v_add_nc_u64_e32 v[28:29], 32, v[28:29]
	s_delay_alu instid0(VALU_DEP_1) | instskip(SKIP_1) | instid1(SALU_CYCLE_1)
	v_cmp_ge_i64_e64 s1, v[28:29], v[18:19]
	s_or_b32 s25, s1, s25
	s_and_not1_b32 exec_lo, exec_lo, s25
	s_cbranch_execz .LBB55_15
.LBB55_8:                               ;   Parent Loop BB55_5 Depth=1
                                        ; =>  This Loop Header: Depth=2
                                        ;       Child Loop BB55_14 Depth 3
	s_delay_alu instid0(VALU_DEP_3) | instskip(NEXT) | instid1(VALU_DEP_1)
	v_add_nc_u64_e32 v[34:35], v[28:29], v[6:7]
	v_cmp_ge_i64_e64 s1, v[34:35], v[18:19]
	s_and_saveexec_b32 s26, s1
	s_delay_alu instid0(SALU_CYCLE_1)
	s_xor_b32 s1, exec_lo, s26
; %bb.9:                                ;   in Loop: Header=BB55_8 Depth=2
	ds_store_b64 v38, v[20:21]
                                        ; implicit-def: $vgpr34_vgpr35
; %bb.10:                               ;   in Loop: Header=BB55_8 Depth=2
	s_or_saveexec_b32 s1, s1
	v_dual_mov_b32 v30, 0 :: v_dual_mov_b32 v31, 0
	v_dual_mov_b32 v32, 0 :: v_dual_mov_b32 v33, 0
	s_xor_b32 exec_lo, exec_lo, s1
	s_cbranch_execz .LBB55_12
; %bb.11:                               ;   in Loop: Header=BB55_8 Depth=2
	v_lshlrev_b64_e32 v[30:31], 5, v[34:35]
	v_lshl_add_u64 v[32:33], v[34:35], 3, s[6:7]
	global_load_b64 v[34:35], v[32:33], off
	v_add_nc_u64_e32 v[40:41], v[12:13], v[30:31]
	s_delay_alu instid0(VALU_DEP_1)
	v_add_nc_u64_e32 v[42:43], s[8:9], v[40:41]
	v_add_nc_u64_e32 v[44:45], s[2:3], v[40:41]
	s_clause 0x2
	global_load_b64 v[30:31], v[40:41], off
	global_load_b32 v32, v[42:43], off
	global_load_b32 v33, v[44:45], off
	s_wait_loadcnt 0x3
	v_sub_nc_u64_e64 v[34:35], v[34:35], s[4:5]
	s_delay_alu instid0(VALU_DEP_1)
	v_lshlrev_b64_e32 v[34:35], 1, v[34:35]
	ds_store_b64 v38, v[34:35]
.LBB55_12:                              ;   in Loop: Header=BB55_8 Depth=2
	s_wait_xcnt 0x0
	s_or_b32 exec_lo, exec_lo, s1
	s_wait_loadcnt 0x0
	ds_store_2addr_b64 v39, v[30:31], v[32:33] offset1:1
	s_wait_dscnt 0x0
	s_barrier_signal -1
	s_barrier_wait -1
	s_and_saveexec_b32 s1, vcc_lo
	s_cbranch_execz .LBB55_7
; %bb.13:                               ;   in Loop: Header=BB55_8 Depth=2
	v_mov_b32_e32 v30, v37
	s_mov_b32 s26, 0
.LBB55_14:                              ;   Parent Loop BB55_5 Depth=1
                                        ;     Parent Loop BB55_8 Depth=2
                                        ; =>    This Inner Loop Header: Depth=3
	s_delay_alu instid0(SALU_CYCLE_1) | instskip(SKIP_1) | instid1(SALU_CYCLE_1)
	v_add_nc_u32_e32 v31, s26, v36
	s_add_co_i32 s26, s26, 16
	s_cmp_lg_u32 s26, 0x100
	ds_load_b128 v[32:35], v31
	s_wait_dscnt 0x0
	v_mul_u64_e32 v[32:33], s[12:13], v[32:33]
	v_mul_u64_e32 v[34:35], s[12:13], v[34:35]
	s_delay_alu instid0(VALU_DEP_2)
	v_lshl_add_u64 v[32:33], v[32:33], 3, v[26:27]
	global_load_b64 v[44:45], v[32:33], off
	s_wait_xcnt 0x0
	v_add_nc_u64_e32 v[32:33], s[20:21], v[32:33]
	global_load_b64 v[46:47], v[32:33], off
	s_wait_xcnt 0x0
	v_lshl_add_u64 v[32:33], v[34:35], 3, v[26:27]
	global_load_b64 v[48:49], v[32:33], off
	s_wait_xcnt 0x0
	v_add_nc_u64_e32 v[32:33], s[20:21], v[32:33]
	global_load_b64 v[50:51], v[32:33], off
	s_wait_xcnt 0x0
	ds_load_b128 v[32:35], v30
	ds_load_2addr_b64 v[40:43], v30 offset0:3 offset1:4
	v_add_nc_u32_e32 v30, 48, v30
	s_wait_loadcnt_dscnt 0x301
	v_pk_fma_f32 v[24:25], v[32:33], v[44:45], v[24:25] op_sel_hi:[1,0,1]
	s_delay_alu instid0(VALU_DEP_1) | instskip(SKIP_3) | instid1(VALU_DEP_3)
	v_pk_fma_f32 v[24:25], v[32:33], v[44:45], v[24:25] op_sel:[1,1,0] op_sel_hi:[0,1,1] neg_lo:[1,0,0]
	v_xor_b32_e32 v32, 0x80000000, v35
	v_mov_b32_e32 v33, v34
	s_wait_loadcnt 0x2
	v_pk_fma_f32 v[24:25], v[34:35], v[46:47], v[24:25] op_sel_hi:[1,0,1]
	s_delay_alu instid0(VALU_DEP_1)
	v_pk_fma_f32 v[24:25], v[32:33], v[46:47], v[24:25] op_sel:[0,1,0]
	s_wait_dscnt 0x0
	v_xor_b32_e32 v32, 0x80000000, v43
	v_mov_b32_e32 v33, v42
	s_wait_loadcnt 0x1
	v_pk_fma_f32 v[24:25], v[40:41], v[48:49], v[24:25] op_sel_hi:[1,0,1]
	s_delay_alu instid0(VALU_DEP_1) | instskip(SKIP_1) | instid1(VALU_DEP_1)
	v_pk_fma_f32 v[24:25], v[40:41], v[48:49], v[24:25] op_sel:[1,1,0] op_sel_hi:[0,1,1] neg_lo:[1,0,0]
	s_wait_loadcnt 0x0
	v_pk_fma_f32 v[24:25], v[42:43], v[50:51], v[24:25] op_sel_hi:[1,0,1]
	s_delay_alu instid0(VALU_DEP_1)
	v_pk_fma_f32 v[24:25], v[32:33], v[50:51], v[24:25] op_sel:[0,1,0]
	s_cbranch_scc1 .LBB55_14
	s_branch .LBB55_7
.LBB55_15:                              ;   in Loop: Header=BB55_5 Depth=1
	s_or_b32 exec_lo, exec_lo, s25
.LBB55_16:                              ;   in Loop: Header=BB55_5 Depth=1
	s_delay_alu instid0(SALU_CYCLE_1) | instskip(NEXT) | instid1(SALU_CYCLE_1)
	s_or_b32 exec_lo, exec_lo, s24
	s_mov_b32 s1, exec_lo
	v_cmpx_gt_i64_e64 s[14:15], v[22:23]
	s_cbranch_execz .LBB55_4
; %bb.17:                               ;   in Loop: Header=BB55_5 Depth=1
	s_and_saveexec_b32 s24, s22
	s_delay_alu instid0(SALU_CYCLE_1)
	s_xor_b32 s24, exec_lo, s24
	s_cbranch_execz .LBB55_22
; %bb.18:                               ;   in Loop: Header=BB55_5 Depth=1
	s_and_b32 vcc_lo, exec_lo, s23
	s_mov_b32 s25, -1
	s_cbranch_vccz .LBB55_20
; %bb.19:                               ;   in Loop: Header=BB55_5 Depth=1
	v_lshl_add_u64 v[26:27], v[22:23], 3, v[14:15]
	v_pk_mul_f32 v[30:31], v[24:25], v[0:1] op_sel:[1,0]
	s_mov_b32 s25, 0
	global_load_b64 v[28:29], v[26:27], off
	v_pk_fma_f32 v[30:31], v[2:3], v[24:25], v[30:31] op_sel_hi:[1,0,1]
	s_wait_loadcnt 0x0
	s_delay_alu instid0(VALU_DEP_1) | instskip(NEXT) | instid1(VALU_DEP_1)
	v_pk_fma_f32 v[30:31], v[4:5], v[28:29], v[30:31] op_sel_hi:[1,0,1]
	v_pk_fma_f32 v[28:29], v[8:9], v[28:29], v[30:31] op_sel:[0,1,0]
	global_store_b64 v[26:27], v[28:29], off
.LBB55_20:                              ;   in Loop: Header=BB55_5 Depth=1
	s_and_not1_b32 vcc_lo, exec_lo, s25
	s_cbranch_vccnz .LBB55_22
; %bb.21:                               ;   in Loop: Header=BB55_5 Depth=1
	v_mul_u64_e32 v[22:23], s[18:19], v[22:23]
	s_wait_xcnt 0x0
	v_pk_mul_f32 v[28:29], v[24:25], v[0:1] op_sel:[1,0]
	s_delay_alu instid0(VALU_DEP_1) | instskip(NEXT) | instid1(VALU_DEP_3)
	v_pk_fma_f32 v[24:25], v[2:3], v[24:25], v[28:29] op_sel_hi:[1,0,1]
	v_lshl_add_u64 v[22:23], v[22:23], 3, v[10:11]
	global_load_b64 v[26:27], v[22:23], off
	s_wait_loadcnt 0x0
	v_pk_fma_f32 v[24:25], v[4:5], v[26:27], v[24:25] op_sel_hi:[1,0,1]
	s_delay_alu instid0(VALU_DEP_1)
	v_pk_fma_f32 v[24:25], v[8:9], v[26:27], v[24:25] op_sel:[0,1,0]
	global_store_b64 v[22:23], v[24:25], off
                                        ; implicit-def: $vgpr22_vgpr23
                                        ; implicit-def: $vgpr24_vgpr25
.LBB55_22:                              ;   in Loop: Header=BB55_5 Depth=1
	s_wait_xcnt 0x0
	s_and_not1_saveexec_b32 s24, s24
	s_cbranch_execz .LBB55_4
; %bb.23:                               ;   in Loop: Header=BB55_5 Depth=1
	v_pk_mul_f32 v[26:27], v[24:25], v[0:1] op_sel:[1,0]
	s_and_b32 vcc_lo, exec_lo, s23
	s_mov_b32 s24, -1
	s_delay_alu instid0(VALU_DEP_1)
	v_pk_fma_f32 v[24:25], v[2:3], v[24:25], v[26:27] op_sel_hi:[1,0,1]
	s_cbranch_vccz .LBB55_25
; %bb.24:                               ;   in Loop: Header=BB55_5 Depth=1
	v_lshl_add_u64 v[26:27], v[22:23], 3, v[14:15]
	s_mov_b32 s24, 0
	global_store_b64 v[26:27], v[24:25], off
.LBB55_25:                              ;   in Loop: Header=BB55_5 Depth=1
	s_and_not1_b32 vcc_lo, exec_lo, s24
	s_cbranch_vccnz .LBB55_4
; %bb.26:                               ;   in Loop: Header=BB55_5 Depth=1
	v_mul_u64_e32 v[22:23], s[18:19], v[22:23]
	s_delay_alu instid0(VALU_DEP_1)
	v_lshl_add_u64 v[22:23], v[22:23], 3, v[10:11]
	global_store_b64 v[22:23], v[24:25], off
	s_branch .LBB55_4
.LBB55_27:
	s_endpgm
	.section	.rodata,"a",@progbits
	.p2align	6, 0x0
	.amdhsa_kernel _ZN9rocsparseL29bsrmmnt_small_blockdim_kernelILj64ELj32ELj2Ell21rocsparse_complex_numIfES2_S2_S2_EEv20rocsparse_direction_T3_S4_llNS_24const_host_device_scalarIT7_EEPKT2_PKS4_PKT4_PKT5_llS7_PT6_ll16rocsparse_order_21rocsparse_index_base_b
		.amdhsa_group_segment_fixed_size 2048
		.amdhsa_private_segment_fixed_size 0
		.amdhsa_kernarg_size 400
		.amdhsa_user_sgpr_count 2
		.amdhsa_user_sgpr_dispatch_ptr 0
		.amdhsa_user_sgpr_queue_ptr 0
		.amdhsa_user_sgpr_kernarg_segment_ptr 1
		.amdhsa_user_sgpr_dispatch_id 0
		.amdhsa_user_sgpr_kernarg_preload_length 0
		.amdhsa_user_sgpr_kernarg_preload_offset 0
		.amdhsa_user_sgpr_private_segment_size 0
		.amdhsa_wavefront_size32 1
		.amdhsa_uses_dynamic_stack 0
		.amdhsa_enable_private_segment 0
		.amdhsa_system_sgpr_workgroup_id_x 1
		.amdhsa_system_sgpr_workgroup_id_y 0
		.amdhsa_system_sgpr_workgroup_id_z 0
		.amdhsa_system_sgpr_workgroup_info 0
		.amdhsa_system_vgpr_workitem_id 0
		.amdhsa_next_free_vgpr 52
		.amdhsa_next_free_sgpr 27
		.amdhsa_named_barrier_count 0
		.amdhsa_reserve_vcc 1
		.amdhsa_float_round_mode_32 0
		.amdhsa_float_round_mode_16_64 0
		.amdhsa_float_denorm_mode_32 3
		.amdhsa_float_denorm_mode_16_64 3
		.amdhsa_fp16_overflow 0
		.amdhsa_memory_ordered 1
		.amdhsa_forward_progress 1
		.amdhsa_inst_pref_size 13
		.amdhsa_round_robin_scheduling 0
		.amdhsa_exception_fp_ieee_invalid_op 0
		.amdhsa_exception_fp_denorm_src 0
		.amdhsa_exception_fp_ieee_div_zero 0
		.amdhsa_exception_fp_ieee_overflow 0
		.amdhsa_exception_fp_ieee_underflow 0
		.amdhsa_exception_fp_ieee_inexact 0
		.amdhsa_exception_int_div_zero 0
	.end_amdhsa_kernel
	.section	.text._ZN9rocsparseL29bsrmmnt_small_blockdim_kernelILj64ELj32ELj2Ell21rocsparse_complex_numIfES2_S2_S2_EEv20rocsparse_direction_T3_S4_llNS_24const_host_device_scalarIT7_EEPKT2_PKS4_PKT4_PKT5_llS7_PT6_ll16rocsparse_order_21rocsparse_index_base_b,"axG",@progbits,_ZN9rocsparseL29bsrmmnt_small_blockdim_kernelILj64ELj32ELj2Ell21rocsparse_complex_numIfES2_S2_S2_EEv20rocsparse_direction_T3_S4_llNS_24const_host_device_scalarIT7_EEPKT2_PKS4_PKT4_PKT5_llS7_PT6_ll16rocsparse_order_21rocsparse_index_base_b,comdat
.Lfunc_end55:
	.size	_ZN9rocsparseL29bsrmmnt_small_blockdim_kernelILj64ELj32ELj2Ell21rocsparse_complex_numIfES2_S2_S2_EEv20rocsparse_direction_T3_S4_llNS_24const_host_device_scalarIT7_EEPKT2_PKS4_PKT4_PKT5_llS7_PT6_ll16rocsparse_order_21rocsparse_index_base_b, .Lfunc_end55-_ZN9rocsparseL29bsrmmnt_small_blockdim_kernelILj64ELj32ELj2Ell21rocsparse_complex_numIfES2_S2_S2_EEv20rocsparse_direction_T3_S4_llNS_24const_host_device_scalarIT7_EEPKT2_PKS4_PKT4_PKT5_llS7_PT6_ll16rocsparse_order_21rocsparse_index_base_b
                                        ; -- End function
	.set _ZN9rocsparseL29bsrmmnt_small_blockdim_kernelILj64ELj32ELj2Ell21rocsparse_complex_numIfES2_S2_S2_EEv20rocsparse_direction_T3_S4_llNS_24const_host_device_scalarIT7_EEPKT2_PKS4_PKT4_PKT5_llS7_PT6_ll16rocsparse_order_21rocsparse_index_base_b.num_vgpr, 52
	.set _ZN9rocsparseL29bsrmmnt_small_blockdim_kernelILj64ELj32ELj2Ell21rocsparse_complex_numIfES2_S2_S2_EEv20rocsparse_direction_T3_S4_llNS_24const_host_device_scalarIT7_EEPKT2_PKS4_PKT4_PKT5_llS7_PT6_ll16rocsparse_order_21rocsparse_index_base_b.num_agpr, 0
	.set _ZN9rocsparseL29bsrmmnt_small_blockdim_kernelILj64ELj32ELj2Ell21rocsparse_complex_numIfES2_S2_S2_EEv20rocsparse_direction_T3_S4_llNS_24const_host_device_scalarIT7_EEPKT2_PKS4_PKT4_PKT5_llS7_PT6_ll16rocsparse_order_21rocsparse_index_base_b.numbered_sgpr, 27
	.set _ZN9rocsparseL29bsrmmnt_small_blockdim_kernelILj64ELj32ELj2Ell21rocsparse_complex_numIfES2_S2_S2_EEv20rocsparse_direction_T3_S4_llNS_24const_host_device_scalarIT7_EEPKT2_PKS4_PKT4_PKT5_llS7_PT6_ll16rocsparse_order_21rocsparse_index_base_b.num_named_barrier, 0
	.set _ZN9rocsparseL29bsrmmnt_small_blockdim_kernelILj64ELj32ELj2Ell21rocsparse_complex_numIfES2_S2_S2_EEv20rocsparse_direction_T3_S4_llNS_24const_host_device_scalarIT7_EEPKT2_PKS4_PKT4_PKT5_llS7_PT6_ll16rocsparse_order_21rocsparse_index_base_b.private_seg_size, 0
	.set _ZN9rocsparseL29bsrmmnt_small_blockdim_kernelILj64ELj32ELj2Ell21rocsparse_complex_numIfES2_S2_S2_EEv20rocsparse_direction_T3_S4_llNS_24const_host_device_scalarIT7_EEPKT2_PKS4_PKT4_PKT5_llS7_PT6_ll16rocsparse_order_21rocsparse_index_base_b.uses_vcc, 1
	.set _ZN9rocsparseL29bsrmmnt_small_blockdim_kernelILj64ELj32ELj2Ell21rocsparse_complex_numIfES2_S2_S2_EEv20rocsparse_direction_T3_S4_llNS_24const_host_device_scalarIT7_EEPKT2_PKS4_PKT4_PKT5_llS7_PT6_ll16rocsparse_order_21rocsparse_index_base_b.uses_flat_scratch, 1
	.set _ZN9rocsparseL29bsrmmnt_small_blockdim_kernelILj64ELj32ELj2Ell21rocsparse_complex_numIfES2_S2_S2_EEv20rocsparse_direction_T3_S4_llNS_24const_host_device_scalarIT7_EEPKT2_PKS4_PKT4_PKT5_llS7_PT6_ll16rocsparse_order_21rocsparse_index_base_b.has_dyn_sized_stack, 0
	.set _ZN9rocsparseL29bsrmmnt_small_blockdim_kernelILj64ELj32ELj2Ell21rocsparse_complex_numIfES2_S2_S2_EEv20rocsparse_direction_T3_S4_llNS_24const_host_device_scalarIT7_EEPKT2_PKS4_PKT4_PKT5_llS7_PT6_ll16rocsparse_order_21rocsparse_index_base_b.has_recursion, 0
	.set _ZN9rocsparseL29bsrmmnt_small_blockdim_kernelILj64ELj32ELj2Ell21rocsparse_complex_numIfES2_S2_S2_EEv20rocsparse_direction_T3_S4_llNS_24const_host_device_scalarIT7_EEPKT2_PKS4_PKT4_PKT5_llS7_PT6_ll16rocsparse_order_21rocsparse_index_base_b.has_indirect_call, 0
	.section	.AMDGPU.csdata,"",@progbits
; Kernel info:
; codeLenInByte = 1548
; TotalNumSgprs: 29
; NumVgprs: 52
; ScratchSize: 0
; MemoryBound: 0
; FloatMode: 240
; IeeeMode: 1
; LDSByteSize: 2048 bytes/workgroup (compile time only)
; SGPRBlocks: 0
; VGPRBlocks: 3
; NumSGPRsForWavesPerEU: 29
; NumVGPRsForWavesPerEU: 52
; NamedBarCnt: 0
; Occupancy: 16
; WaveLimiterHint : 1
; COMPUTE_PGM_RSRC2:SCRATCH_EN: 0
; COMPUTE_PGM_RSRC2:USER_SGPR: 2
; COMPUTE_PGM_RSRC2:TRAP_HANDLER: 0
; COMPUTE_PGM_RSRC2:TGID_X_EN: 1
; COMPUTE_PGM_RSRC2:TGID_Y_EN: 0
; COMPUTE_PGM_RSRC2:TGID_Z_EN: 0
; COMPUTE_PGM_RSRC2:TIDIG_COMP_CNT: 0
	.section	.text._ZN9rocsparseL29bsrmmnt_small_blockdim_kernelILj64ELj64ELj2Ell21rocsparse_complex_numIfES2_S2_S2_EEv20rocsparse_direction_T3_S4_llNS_24const_host_device_scalarIT7_EEPKT2_PKS4_PKT4_PKT5_llS7_PT6_ll16rocsparse_order_21rocsparse_index_base_b,"axG",@progbits,_ZN9rocsparseL29bsrmmnt_small_blockdim_kernelILj64ELj64ELj2Ell21rocsparse_complex_numIfES2_S2_S2_EEv20rocsparse_direction_T3_S4_llNS_24const_host_device_scalarIT7_EEPKT2_PKS4_PKT4_PKT5_llS7_PT6_ll16rocsparse_order_21rocsparse_index_base_b,comdat
	.globl	_ZN9rocsparseL29bsrmmnt_small_blockdim_kernelILj64ELj64ELj2Ell21rocsparse_complex_numIfES2_S2_S2_EEv20rocsparse_direction_T3_S4_llNS_24const_host_device_scalarIT7_EEPKT2_PKS4_PKT4_PKT5_llS7_PT6_ll16rocsparse_order_21rocsparse_index_base_b ; -- Begin function _ZN9rocsparseL29bsrmmnt_small_blockdim_kernelILj64ELj64ELj2Ell21rocsparse_complex_numIfES2_S2_S2_EEv20rocsparse_direction_T3_S4_llNS_24const_host_device_scalarIT7_EEPKT2_PKS4_PKT4_PKT5_llS7_PT6_ll16rocsparse_order_21rocsparse_index_base_b
	.p2align	8
	.type	_ZN9rocsparseL29bsrmmnt_small_blockdim_kernelILj64ELj64ELj2Ell21rocsparse_complex_numIfES2_S2_S2_EEv20rocsparse_direction_T3_S4_llNS_24const_host_device_scalarIT7_EEPKT2_PKS4_PKT4_PKT5_llS7_PT6_ll16rocsparse_order_21rocsparse_index_base_b,@function
_ZN9rocsparseL29bsrmmnt_small_blockdim_kernelILj64ELj64ELj2Ell21rocsparse_complex_numIfES2_S2_S2_EEv20rocsparse_direction_T3_S4_llNS_24const_host_device_scalarIT7_EEPKT2_PKS4_PKT4_PKT5_llS7_PT6_ll16rocsparse_order_21rocsparse_index_base_b: ; @_ZN9rocsparseL29bsrmmnt_small_blockdim_kernelILj64ELj64ELj2Ell21rocsparse_complex_numIfES2_S2_S2_EEv20rocsparse_direction_T3_S4_llNS_24const_host_device_scalarIT7_EEPKT2_PKS4_PKT4_PKT5_llS7_PT6_ll16rocsparse_order_21rocsparse_index_base_b
; %bb.0:
	s_clause 0x2
	s_load_b96 s[20:22], s[0:1], 0x80
	s_load_b64 s[2:3], s[0:1], 0x28
	s_load_b64 s[4:5], s[0:1], 0x60
	v_mov_b32_e32 v7, 0
	s_add_nc_u64 s[6:7], s[0:1], 40
	s_add_nc_u64 s[8:9], s[0:1], 0x60
	s_wait_kmcnt 0x0
	s_bitcmp1_b32 s22, 0
	s_cselect_b32 s3, s7, s3
	s_cselect_b32 s2, s6, s2
	;; [unrolled: 1-line block ×4, first 2 shown]
	s_clause 0x1
	flat_load_b64 v[2:3], v7, s[2:3]
	flat_load_b64 v[4:5], v7, s[4:5]
	s_wait_loadcnt_dscnt 0x101
	v_cmp_eq_f32_e32 vcc_lo, 0, v2
	v_cmp_eq_f32_e64 s3, 0, v3
	s_wait_loadcnt_dscnt 0x0
	v_cmp_eq_f32_e64 s4, 1.0, v4
	v_cmp_eq_f32_e64 s2, 0, v5
	s_and_b32 s3, vcc_lo, s3
	s_and_b32 s4, s4, s2
	s_delay_alu instid0(SALU_CYCLE_1) | instskip(NEXT) | instid1(SALU_CYCLE_1)
	s_and_b32 s3, s3, s4
	s_xor_b32 s3, s3, -1
	s_delay_alu instid0(SALU_CYCLE_1)
	s_and_saveexec_b32 s4, s3
	s_cbranch_execz .LBB56_27
; %bb.1:
	s_clause 0x1
	s_load_b32 s3, s[0:1], 0x9c
	s_load_b128 s[12:15], s[0:1], 0x8
	s_bfe_u32 s4, ttmp6, 0x4000c
	s_and_b32 s5, ttmp6, 15
	s_add_co_i32 s4, s4, 1
	s_getreg_b32 s6, hwreg(HW_REG_IB_STS2, 6, 4)
	s_mul_i32 s4, ttmp9, s4
	s_delay_alu instid0(SALU_CYCLE_1) | instskip(SKIP_4) | instid1(SALU_CYCLE_1)
	s_add_co_i32 s5, s5, s4
	s_wait_kmcnt 0x0
	s_and_b32 s3, s3, 0xffff
	s_cmp_eq_u32 s6, 0
	s_cselect_b32 s4, ttmp9, s5
	v_mad_u32 v1, s4, s3, v0
	s_delay_alu instid0(VALU_DEP_1) | instskip(NEXT) | instid1(VALU_DEP_1)
	v_lshrrev_b32_e32 v6, 7, v1
	v_cmp_gt_i64_e32 vcc_lo, s[12:13], v[6:7]
	s_and_b32 exec_lo, exec_lo, vcc_lo
	s_cbranch_execz .LBB56_27
; %bb.2:
	v_cmp_lt_i64_e64 s3, s[14:15], 1
	s_and_b32 vcc_lo, exec_lo, s3
	s_cbranch_vccnz .LBB56_27
; %bb.3:
	s_load_b256 s[4:11], s[0:1], 0x30
	v_dual_lshlrev_b32 v6, 3, v6 :: v_dual_lshrrev_b32 v10, 6, v1
	s_load_b128 s[16:19], s[0:1], 0x68
	v_mov_b32_e32 v11, 0
	v_cmp_neq_f32_e32 vcc_lo, 0, v4
	s_mov_b32 s13, 0
	v_lshlrev_b32_e32 v12, 3, v10
	s_mov_b32 s12, s21
	v_dual_mov_b32 v17, v11 :: v_dual_mov_b32 v13, v11
	s_delay_alu instid0(VALU_DEP_2)
	v_dual_mov_b32 v1, v11 :: v_dual_bitop2_b32 v16, 8, v12 bitop3:0x40
	v_lshl_or_b32 v36, v0, 3, 0x600
	v_mul_u32_u24_e32 v37, 24, v0
	v_xor_b32_e32 v8, 0x80000000, v5
	v_dual_mov_b32 v7, v2 :: v_dual_mov_b32 v9, v4
	s_mov_b32 s3, s13
	s_wait_kmcnt 0x0
	global_load_b128 v[20:23], v6, s[4:5]
	s_wait_xcnt 0x0
	s_load_b64 s[4:5], s[0:1], 0x50
	v_add_nc_u64_e32 v[18:19], s[8:9], v[16:17]
	v_mul_u64_e32 v[14:15], s[18:19], v[10:11]
	s_wait_xcnt 0x0
	s_load_b32 s0, s[0:1], 0x0
	s_wait_xcnt 0x0
	s_xor_b32 s1, s2, -1
	v_add_nc_u64_e32 v[10:11], s[16:17], v[12:13]
	s_or_b32 s22, vcc_lo, s1
	s_cmp_lg_u32 s20, 1
	v_add_nc_u64_e32 v[16:17], v[18:19], v[16:17]
	s_cselect_b32 s23, -1, 0
	v_xor_b32_e32 v6, 0x80000000, v3
	s_mov_b32 s9, s13
	s_wait_kmcnt 0x0
	s_cmp_eq_u32 s0, 0
	s_cselect_b32 vcc_lo, -1, 0
	s_delay_alu instid0(SALU_CYCLE_1)
	s_and_b32 s0, vcc_lo, exec_lo
	v_dual_cndmask_b32 v13, v19, v17 :: v_dual_cndmask_b32 v12, v18, v16
	s_cselect_b32 s2, 12, 20
	s_cselect_b32 s8, 8, 16
	s_lshl_b64 s[20:21], s[4:5], 3
	v_lshl_add_u64 v[14:15], v[14:15], 3, s[16:17]
	s_mov_b64 s[16:17], 0
	s_wait_loadcnt 0x0
	v_sub_nc_u64_e64 v[16:17], v[20:21], s[12:13]
	v_sub_nc_u64_e64 v[18:19], v[22:23], s[12:13]
	v_cmp_lt_i64_e64 s0, v[20:21], v[22:23]
	v_mov_b64_e32 v[20:21], 0
	s_branch .LBB56_5
.LBB56_4:                               ;   in Loop: Header=BB56_5 Depth=1
	s_wait_xcnt 0x0
	s_or_b32 exec_lo, exec_lo, s1
	s_add_nc_u64 s[16:17], s[16:17], 64
	s_delay_alu instid0(SALU_CYCLE_1)
	v_cmp_lt_i64_e64 s1, s[16:17], s[14:15]
	s_and_b32 vcc_lo, exec_lo, s1
	s_cbranch_vccz .LBB56_27
.LBB56_5:                               ; =>This Loop Header: Depth=1
                                        ;     Child Loop BB56_8 Depth 2
                                        ;       Child Loop BB56_14 Depth 3
	v_mov_b64_e32 v[24:25], 0
	v_dual_mov_b32 v23, s17 :: v_dual_bitop2_b32 v22, s16, v0 bitop3:0x54
	s_delay_alu instid0(VALU_DEP_4)
	s_and_saveexec_b32 s24, s0
	s_cbranch_execz .LBB56_16
; %bb.6:                                ;   in Loop: Header=BB56_5 Depth=1
	v_mov_b64_e32 v[24:25], 0
	v_mov_b64_e32 v[28:29], v[16:17]
	v_lshl_add_u64 v[26:27], v[22:23], 3, s[10:11]
	s_mov_b32 s25, 0
	v_cmp_gt_i64_e32 vcc_lo, s[14:15], v[22:23]
	s_branch .LBB56_8
.LBB56_7:                               ;   in Loop: Header=BB56_8 Depth=2
	s_or_b32 exec_lo, exec_lo, s1
	v_add_nc_u64_e32 v[28:29], 64, v[28:29]
	s_delay_alu instid0(VALU_DEP_1) | instskip(SKIP_1) | instid1(SALU_CYCLE_1)
	v_cmp_ge_i64_e64 s1, v[28:29], v[18:19]
	s_or_b32 s25, s1, s25
	s_and_not1_b32 exec_lo, exec_lo, s25
	s_cbranch_execz .LBB56_15
.LBB56_8:                               ;   Parent Loop BB56_5 Depth=1
                                        ; =>  This Loop Header: Depth=2
                                        ;       Child Loop BB56_14 Depth 3
	s_delay_alu instid0(VALU_DEP_3) | instskip(NEXT) | instid1(VALU_DEP_1)
	v_add_nc_u64_e32 v[34:35], v[28:29], v[0:1]
	v_cmp_ge_i64_e64 s1, v[34:35], v[18:19]
	s_and_saveexec_b32 s26, s1
	s_delay_alu instid0(SALU_CYCLE_1)
	s_xor_b32 s1, exec_lo, s26
; %bb.9:                                ;   in Loop: Header=BB56_8 Depth=2
	ds_store_b64 v36, v[20:21]
                                        ; implicit-def: $vgpr34_vgpr35
; %bb.10:                               ;   in Loop: Header=BB56_8 Depth=2
	s_or_saveexec_b32 s1, s1
	v_dual_mov_b32 v30, 0 :: v_dual_mov_b32 v31, 0
	v_dual_mov_b32 v32, 0 :: v_dual_mov_b32 v33, 0
	s_xor_b32 exec_lo, exec_lo, s1
	s_cbranch_execz .LBB56_12
; %bb.11:                               ;   in Loop: Header=BB56_8 Depth=2
	v_lshlrev_b64_e32 v[30:31], 5, v[34:35]
	v_lshl_add_u64 v[32:33], v[34:35], 3, s[6:7]
	global_load_b64 v[34:35], v[32:33], off
	v_add_nc_u64_e32 v[38:39], v[12:13], v[30:31]
	s_delay_alu instid0(VALU_DEP_1)
	v_add_nc_u64_e32 v[40:41], s[8:9], v[38:39]
	v_add_nc_u64_e32 v[42:43], s[2:3], v[38:39]
	s_clause 0x2
	global_load_b64 v[30:31], v[38:39], off
	global_load_b32 v32, v[40:41], off
	global_load_b32 v33, v[42:43], off
	s_wait_loadcnt 0x3
	v_sub_nc_u64_e64 v[34:35], v[34:35], s[12:13]
	s_delay_alu instid0(VALU_DEP_1)
	v_lshlrev_b64_e32 v[34:35], 1, v[34:35]
	ds_store_b64 v36, v[34:35]
.LBB56_12:                              ;   in Loop: Header=BB56_8 Depth=2
	s_wait_xcnt 0x0
	s_or_b32 exec_lo, exec_lo, s1
	s_wait_loadcnt 0x0
	ds_store_2addr_b64 v37, v[30:31], v[32:33] offset1:1
	s_wait_dscnt 0x0
	s_barrier_signal -1
	s_barrier_wait -1
	s_and_saveexec_b32 s1, vcc_lo
	s_cbranch_execz .LBB56_7
; %bb.13:                               ;   in Loop: Header=BB56_8 Depth=2
	v_mov_b32_e32 v30, 0
	s_mov_b32 s26, 0
.LBB56_14:                              ;   Parent Loop BB56_5 Depth=1
                                        ;     Parent Loop BB56_8 Depth=2
                                        ; =>    This Inner Loop Header: Depth=3
	s_delay_alu instid0(SALU_CYCLE_1) | instskip(SKIP_1) | instid1(SALU_CYCLE_1)
	v_add_nc_u32_e64 v31, 0x600, s26
	s_add_co_i32 s26, s26, 16
	s_cmp_lg_u32 s26, 0x200
	ds_load_b128 v[32:35], v31
	s_wait_dscnt 0x0
	v_mul_u64_e32 v[32:33], s[4:5], v[32:33]
	v_mul_u64_e32 v[34:35], s[4:5], v[34:35]
	s_delay_alu instid0(VALU_DEP_2)
	v_lshl_add_u64 v[32:33], v[32:33], 3, v[26:27]
	global_load_b64 v[42:43], v[32:33], off
	s_wait_xcnt 0x0
	v_add_nc_u64_e32 v[32:33], s[20:21], v[32:33]
	global_load_b64 v[44:45], v[32:33], off
	s_wait_xcnt 0x0
	v_lshl_add_u64 v[32:33], v[34:35], 3, v[26:27]
	global_load_b64 v[46:47], v[32:33], off
	s_wait_xcnt 0x0
	v_add_nc_u64_e32 v[32:33], s[20:21], v[32:33]
	global_load_b64 v[48:49], v[32:33], off
	s_wait_xcnt 0x0
	ds_load_b128 v[32:35], v30
	ds_load_2addr_b64 v[38:41], v30 offset0:3 offset1:4
	v_add_nc_u32_e32 v30, 48, v30
	s_wait_loadcnt_dscnt 0x301
	v_pk_fma_f32 v[24:25], v[32:33], v[42:43], v[24:25] op_sel_hi:[1,0,1]
	s_delay_alu instid0(VALU_DEP_1) | instskip(SKIP_3) | instid1(VALU_DEP_3)
	v_pk_fma_f32 v[24:25], v[32:33], v[42:43], v[24:25] op_sel:[1,1,0] op_sel_hi:[0,1,1] neg_lo:[1,0,0]
	v_xor_b32_e32 v32, 0x80000000, v35
	v_mov_b32_e32 v33, v34
	s_wait_loadcnt 0x2
	v_pk_fma_f32 v[24:25], v[34:35], v[44:45], v[24:25] op_sel_hi:[1,0,1]
	s_delay_alu instid0(VALU_DEP_1)
	v_pk_fma_f32 v[24:25], v[32:33], v[44:45], v[24:25] op_sel:[0,1,0]
	s_wait_dscnt 0x0
	v_xor_b32_e32 v32, 0x80000000, v41
	v_mov_b32_e32 v33, v40
	s_wait_loadcnt 0x1
	v_pk_fma_f32 v[24:25], v[38:39], v[46:47], v[24:25] op_sel_hi:[1,0,1]
	s_delay_alu instid0(VALU_DEP_1) | instskip(SKIP_1) | instid1(VALU_DEP_1)
	v_pk_fma_f32 v[24:25], v[38:39], v[46:47], v[24:25] op_sel:[1,1,0] op_sel_hi:[0,1,1] neg_lo:[1,0,0]
	s_wait_loadcnt 0x0
	v_pk_fma_f32 v[24:25], v[40:41], v[48:49], v[24:25] op_sel_hi:[1,0,1]
	s_delay_alu instid0(VALU_DEP_1)
	v_pk_fma_f32 v[24:25], v[32:33], v[48:49], v[24:25] op_sel:[0,1,0]
	s_cbranch_scc1 .LBB56_14
	s_branch .LBB56_7
.LBB56_15:                              ;   in Loop: Header=BB56_5 Depth=1
	s_or_b32 exec_lo, exec_lo, s25
.LBB56_16:                              ;   in Loop: Header=BB56_5 Depth=1
	s_delay_alu instid0(SALU_CYCLE_1) | instskip(NEXT) | instid1(SALU_CYCLE_1)
	s_or_b32 exec_lo, exec_lo, s24
	s_mov_b32 s1, exec_lo
	v_cmpx_gt_i64_e64 s[14:15], v[22:23]
	s_cbranch_execz .LBB56_4
; %bb.17:                               ;   in Loop: Header=BB56_5 Depth=1
	s_and_saveexec_b32 s24, s22
	s_delay_alu instid0(SALU_CYCLE_1)
	s_xor_b32 s24, exec_lo, s24
	s_cbranch_execz .LBB56_22
; %bb.18:                               ;   in Loop: Header=BB56_5 Depth=1
	s_and_b32 vcc_lo, exec_lo, s23
	s_mov_b32 s25, -1
	s_cbranch_vccz .LBB56_20
; %bb.19:                               ;   in Loop: Header=BB56_5 Depth=1
	v_lshl_add_u64 v[26:27], v[22:23], 3, v[14:15]
	v_pk_mul_f32 v[30:31], v[24:25], v[6:7] op_sel:[1,0]
	s_mov_b32 s25, 0
	global_load_b64 v[28:29], v[26:27], off
	v_pk_fma_f32 v[30:31], v[2:3], v[24:25], v[30:31] op_sel_hi:[1,0,1]
	s_wait_loadcnt 0x0
	s_delay_alu instid0(VALU_DEP_1) | instskip(NEXT) | instid1(VALU_DEP_1)
	v_pk_fma_f32 v[30:31], v[4:5], v[28:29], v[30:31] op_sel_hi:[1,0,1]
	v_pk_fma_f32 v[28:29], v[8:9], v[28:29], v[30:31] op_sel:[0,1,0]
	global_store_b64 v[26:27], v[28:29], off
.LBB56_20:                              ;   in Loop: Header=BB56_5 Depth=1
	s_and_not1_b32 vcc_lo, exec_lo, s25
	s_cbranch_vccnz .LBB56_22
; %bb.21:                               ;   in Loop: Header=BB56_5 Depth=1
	v_mul_u64_e32 v[22:23], s[18:19], v[22:23]
	s_wait_xcnt 0x0
	v_pk_mul_f32 v[28:29], v[24:25], v[6:7] op_sel:[1,0]
	s_delay_alu instid0(VALU_DEP_1) | instskip(NEXT) | instid1(VALU_DEP_3)
	v_pk_fma_f32 v[24:25], v[2:3], v[24:25], v[28:29] op_sel_hi:[1,0,1]
	v_lshl_add_u64 v[22:23], v[22:23], 3, v[10:11]
	global_load_b64 v[26:27], v[22:23], off
	s_wait_loadcnt 0x0
	v_pk_fma_f32 v[24:25], v[4:5], v[26:27], v[24:25] op_sel_hi:[1,0,1]
	s_delay_alu instid0(VALU_DEP_1)
	v_pk_fma_f32 v[24:25], v[8:9], v[26:27], v[24:25] op_sel:[0,1,0]
	global_store_b64 v[22:23], v[24:25], off
                                        ; implicit-def: $vgpr22_vgpr23
                                        ; implicit-def: $vgpr24_vgpr25
.LBB56_22:                              ;   in Loop: Header=BB56_5 Depth=1
	s_wait_xcnt 0x0
	s_and_not1_saveexec_b32 s24, s24
	s_cbranch_execz .LBB56_4
; %bb.23:                               ;   in Loop: Header=BB56_5 Depth=1
	v_pk_mul_f32 v[26:27], v[24:25], v[6:7] op_sel:[1,0]
	s_and_b32 vcc_lo, exec_lo, s23
	s_mov_b32 s24, -1
	s_delay_alu instid0(VALU_DEP_1)
	v_pk_fma_f32 v[24:25], v[2:3], v[24:25], v[26:27] op_sel_hi:[1,0,1]
	s_cbranch_vccz .LBB56_25
; %bb.24:                               ;   in Loop: Header=BB56_5 Depth=1
	v_lshl_add_u64 v[26:27], v[22:23], 3, v[14:15]
	s_mov_b32 s24, 0
	global_store_b64 v[26:27], v[24:25], off
.LBB56_25:                              ;   in Loop: Header=BB56_5 Depth=1
	s_and_not1_b32 vcc_lo, exec_lo, s24
	s_cbranch_vccnz .LBB56_4
; %bb.26:                               ;   in Loop: Header=BB56_5 Depth=1
	v_mul_u64_e32 v[22:23], s[18:19], v[22:23]
	s_delay_alu instid0(VALU_DEP_1)
	v_lshl_add_u64 v[22:23], v[22:23], 3, v[10:11]
	global_store_b64 v[22:23], v[24:25], off
	s_branch .LBB56_4
.LBB56_27:
	s_endpgm
	.section	.rodata,"a",@progbits
	.p2align	6, 0x0
	.amdhsa_kernel _ZN9rocsparseL29bsrmmnt_small_blockdim_kernelILj64ELj64ELj2Ell21rocsparse_complex_numIfES2_S2_S2_EEv20rocsparse_direction_T3_S4_llNS_24const_host_device_scalarIT7_EEPKT2_PKS4_PKT4_PKT5_llS7_PT6_ll16rocsparse_order_21rocsparse_index_base_b
		.amdhsa_group_segment_fixed_size 2048
		.amdhsa_private_segment_fixed_size 0
		.amdhsa_kernarg_size 400
		.amdhsa_user_sgpr_count 2
		.amdhsa_user_sgpr_dispatch_ptr 0
		.amdhsa_user_sgpr_queue_ptr 0
		.amdhsa_user_sgpr_kernarg_segment_ptr 1
		.amdhsa_user_sgpr_dispatch_id 0
		.amdhsa_user_sgpr_kernarg_preload_length 0
		.amdhsa_user_sgpr_kernarg_preload_offset 0
		.amdhsa_user_sgpr_private_segment_size 0
		.amdhsa_wavefront_size32 1
		.amdhsa_uses_dynamic_stack 0
		.amdhsa_enable_private_segment 0
		.amdhsa_system_sgpr_workgroup_id_x 1
		.amdhsa_system_sgpr_workgroup_id_y 0
		.amdhsa_system_sgpr_workgroup_id_z 0
		.amdhsa_system_sgpr_workgroup_info 0
		.amdhsa_system_vgpr_workitem_id 0
		.amdhsa_next_free_vgpr 50
		.amdhsa_next_free_sgpr 27
		.amdhsa_named_barrier_count 0
		.amdhsa_reserve_vcc 1
		.amdhsa_float_round_mode_32 0
		.amdhsa_float_round_mode_16_64 0
		.amdhsa_float_denorm_mode_32 3
		.amdhsa_float_denorm_mode_16_64 3
		.amdhsa_fp16_overflow 0
		.amdhsa_memory_ordered 1
		.amdhsa_forward_progress 1
		.amdhsa_inst_pref_size 13
		.amdhsa_round_robin_scheduling 0
		.amdhsa_exception_fp_ieee_invalid_op 0
		.amdhsa_exception_fp_denorm_src 0
		.amdhsa_exception_fp_ieee_div_zero 0
		.amdhsa_exception_fp_ieee_overflow 0
		.amdhsa_exception_fp_ieee_underflow 0
		.amdhsa_exception_fp_ieee_inexact 0
		.amdhsa_exception_int_div_zero 0
	.end_amdhsa_kernel
	.section	.text._ZN9rocsparseL29bsrmmnt_small_blockdim_kernelILj64ELj64ELj2Ell21rocsparse_complex_numIfES2_S2_S2_EEv20rocsparse_direction_T3_S4_llNS_24const_host_device_scalarIT7_EEPKT2_PKS4_PKT4_PKT5_llS7_PT6_ll16rocsparse_order_21rocsparse_index_base_b,"axG",@progbits,_ZN9rocsparseL29bsrmmnt_small_blockdim_kernelILj64ELj64ELj2Ell21rocsparse_complex_numIfES2_S2_S2_EEv20rocsparse_direction_T3_S4_llNS_24const_host_device_scalarIT7_EEPKT2_PKS4_PKT4_PKT5_llS7_PT6_ll16rocsparse_order_21rocsparse_index_base_b,comdat
.Lfunc_end56:
	.size	_ZN9rocsparseL29bsrmmnt_small_blockdim_kernelILj64ELj64ELj2Ell21rocsparse_complex_numIfES2_S2_S2_EEv20rocsparse_direction_T3_S4_llNS_24const_host_device_scalarIT7_EEPKT2_PKS4_PKT4_PKT5_llS7_PT6_ll16rocsparse_order_21rocsparse_index_base_b, .Lfunc_end56-_ZN9rocsparseL29bsrmmnt_small_blockdim_kernelILj64ELj64ELj2Ell21rocsparse_complex_numIfES2_S2_S2_EEv20rocsparse_direction_T3_S4_llNS_24const_host_device_scalarIT7_EEPKT2_PKS4_PKT4_PKT5_llS7_PT6_ll16rocsparse_order_21rocsparse_index_base_b
                                        ; -- End function
	.set _ZN9rocsparseL29bsrmmnt_small_blockdim_kernelILj64ELj64ELj2Ell21rocsparse_complex_numIfES2_S2_S2_EEv20rocsparse_direction_T3_S4_llNS_24const_host_device_scalarIT7_EEPKT2_PKS4_PKT4_PKT5_llS7_PT6_ll16rocsparse_order_21rocsparse_index_base_b.num_vgpr, 50
	.set _ZN9rocsparseL29bsrmmnt_small_blockdim_kernelILj64ELj64ELj2Ell21rocsparse_complex_numIfES2_S2_S2_EEv20rocsparse_direction_T3_S4_llNS_24const_host_device_scalarIT7_EEPKT2_PKS4_PKT4_PKT5_llS7_PT6_ll16rocsparse_order_21rocsparse_index_base_b.num_agpr, 0
	.set _ZN9rocsparseL29bsrmmnt_small_blockdim_kernelILj64ELj64ELj2Ell21rocsparse_complex_numIfES2_S2_S2_EEv20rocsparse_direction_T3_S4_llNS_24const_host_device_scalarIT7_EEPKT2_PKS4_PKT4_PKT5_llS7_PT6_ll16rocsparse_order_21rocsparse_index_base_b.numbered_sgpr, 27
	.set _ZN9rocsparseL29bsrmmnt_small_blockdim_kernelILj64ELj64ELj2Ell21rocsparse_complex_numIfES2_S2_S2_EEv20rocsparse_direction_T3_S4_llNS_24const_host_device_scalarIT7_EEPKT2_PKS4_PKT4_PKT5_llS7_PT6_ll16rocsparse_order_21rocsparse_index_base_b.num_named_barrier, 0
	.set _ZN9rocsparseL29bsrmmnt_small_blockdim_kernelILj64ELj64ELj2Ell21rocsparse_complex_numIfES2_S2_S2_EEv20rocsparse_direction_T3_S4_llNS_24const_host_device_scalarIT7_EEPKT2_PKS4_PKT4_PKT5_llS7_PT6_ll16rocsparse_order_21rocsparse_index_base_b.private_seg_size, 0
	.set _ZN9rocsparseL29bsrmmnt_small_blockdim_kernelILj64ELj64ELj2Ell21rocsparse_complex_numIfES2_S2_S2_EEv20rocsparse_direction_T3_S4_llNS_24const_host_device_scalarIT7_EEPKT2_PKS4_PKT4_PKT5_llS7_PT6_ll16rocsparse_order_21rocsparse_index_base_b.uses_vcc, 1
	.set _ZN9rocsparseL29bsrmmnt_small_blockdim_kernelILj64ELj64ELj2Ell21rocsparse_complex_numIfES2_S2_S2_EEv20rocsparse_direction_T3_S4_llNS_24const_host_device_scalarIT7_EEPKT2_PKS4_PKT4_PKT5_llS7_PT6_ll16rocsparse_order_21rocsparse_index_base_b.uses_flat_scratch, 1
	.set _ZN9rocsparseL29bsrmmnt_small_blockdim_kernelILj64ELj64ELj2Ell21rocsparse_complex_numIfES2_S2_S2_EEv20rocsparse_direction_T3_S4_llNS_24const_host_device_scalarIT7_EEPKT2_PKS4_PKT4_PKT5_llS7_PT6_ll16rocsparse_order_21rocsparse_index_base_b.has_dyn_sized_stack, 0
	.set _ZN9rocsparseL29bsrmmnt_small_blockdim_kernelILj64ELj64ELj2Ell21rocsparse_complex_numIfES2_S2_S2_EEv20rocsparse_direction_T3_S4_llNS_24const_host_device_scalarIT7_EEPKT2_PKS4_PKT4_PKT5_llS7_PT6_ll16rocsparse_order_21rocsparse_index_base_b.has_recursion, 0
	.set _ZN9rocsparseL29bsrmmnt_small_blockdim_kernelILj64ELj64ELj2Ell21rocsparse_complex_numIfES2_S2_S2_EEv20rocsparse_direction_T3_S4_llNS_24const_host_device_scalarIT7_EEPKT2_PKS4_PKT4_PKT5_llS7_PT6_ll16rocsparse_order_21rocsparse_index_base_b.has_indirect_call, 0
	.section	.AMDGPU.csdata,"",@progbits
; Kernel info:
; codeLenInByte = 1540
; TotalNumSgprs: 29
; NumVgprs: 50
; ScratchSize: 0
; MemoryBound: 0
; FloatMode: 240
; IeeeMode: 1
; LDSByteSize: 2048 bytes/workgroup (compile time only)
; SGPRBlocks: 0
; VGPRBlocks: 3
; NumSGPRsForWavesPerEU: 29
; NumVGPRsForWavesPerEU: 50
; NamedBarCnt: 0
; Occupancy: 16
; WaveLimiterHint : 1
; COMPUTE_PGM_RSRC2:SCRATCH_EN: 0
; COMPUTE_PGM_RSRC2:USER_SGPR: 2
; COMPUTE_PGM_RSRC2:TRAP_HANDLER: 0
; COMPUTE_PGM_RSRC2:TGID_X_EN: 1
; COMPUTE_PGM_RSRC2:TGID_Y_EN: 0
; COMPUTE_PGM_RSRC2:TGID_Z_EN: 0
; COMPUTE_PGM_RSRC2:TIDIG_COMP_CNT: 0
	.section	.text._ZN9rocsparseL29bsrmmnt_small_blockdim_kernelILj64ELj8ELj2Eii21rocsparse_complex_numIdES2_S2_S2_EEv20rocsparse_direction_T3_S4_llNS_24const_host_device_scalarIT7_EEPKT2_PKS4_PKT4_PKT5_llS7_PT6_ll16rocsparse_order_21rocsparse_index_base_b,"axG",@progbits,_ZN9rocsparseL29bsrmmnt_small_blockdim_kernelILj64ELj8ELj2Eii21rocsparse_complex_numIdES2_S2_S2_EEv20rocsparse_direction_T3_S4_llNS_24const_host_device_scalarIT7_EEPKT2_PKS4_PKT4_PKT5_llS7_PT6_ll16rocsparse_order_21rocsparse_index_base_b,comdat
	.globl	_ZN9rocsparseL29bsrmmnt_small_blockdim_kernelILj64ELj8ELj2Eii21rocsparse_complex_numIdES2_S2_S2_EEv20rocsparse_direction_T3_S4_llNS_24const_host_device_scalarIT7_EEPKT2_PKS4_PKT4_PKT5_llS7_PT6_ll16rocsparse_order_21rocsparse_index_base_b ; -- Begin function _ZN9rocsparseL29bsrmmnt_small_blockdim_kernelILj64ELj8ELj2Eii21rocsparse_complex_numIdES2_S2_S2_EEv20rocsparse_direction_T3_S4_llNS_24const_host_device_scalarIT7_EEPKT2_PKS4_PKT4_PKT5_llS7_PT6_ll16rocsparse_order_21rocsparse_index_base_b
	.p2align	8
	.type	_ZN9rocsparseL29bsrmmnt_small_blockdim_kernelILj64ELj8ELj2Eii21rocsparse_complex_numIdES2_S2_S2_EEv20rocsparse_direction_T3_S4_llNS_24const_host_device_scalarIT7_EEPKT2_PKS4_PKT4_PKT5_llS7_PT6_ll16rocsparse_order_21rocsparse_index_base_b,@function
_ZN9rocsparseL29bsrmmnt_small_blockdim_kernelILj64ELj8ELj2Eii21rocsparse_complex_numIdES2_S2_S2_EEv20rocsparse_direction_T3_S4_llNS_24const_host_device_scalarIT7_EEPKT2_PKS4_PKT4_PKT5_llS7_PT6_ll16rocsparse_order_21rocsparse_index_base_b: ; @_ZN9rocsparseL29bsrmmnt_small_blockdim_kernelILj64ELj8ELj2Eii21rocsparse_complex_numIdES2_S2_S2_EEv20rocsparse_direction_T3_S4_llNS_24const_host_device_scalarIT7_EEPKT2_PKS4_PKT4_PKT5_llS7_PT6_ll16rocsparse_order_21rocsparse_index_base_b
; %bb.0:
	s_clause 0x1
	s_load_b96 s[16:18], s[0:1], 0x88
	s_load_b64 s[2:3], s[0:1], 0x20
	v_mov_b32_e32 v1, 0
	s_add_nc_u64 s[4:5], s[0:1], 32
	s_load_b64 s[6:7], s[0:1], 0x60
	s_wait_kmcnt 0x0
	s_bitcmp1_b32 s18, 0
	s_cselect_b32 s3, s5, s3
	s_cselect_b32 s2, s4, s2
	flat_load_b128 v[2:5], v1, s[2:3]
	s_wait_xcnt 0x0
	s_add_nc_u64 s[2:3], s[0:1], 0x60
	s_delay_alu instid0(SALU_CYCLE_1)
	s_cselect_b32 s3, s3, s7
	s_cselect_b32 s2, s2, s6
	flat_load_b128 v[6:9], v1, s[2:3]
	s_wait_loadcnt_dscnt 0x101
	v_cmp_eq_f64_e32 vcc_lo, 0, v[2:3]
	s_wait_xcnt 0x0
	v_cmp_eq_f64_e64 s2, 0, v[4:5]
	s_and_b32 s4, vcc_lo, s2
	s_mov_b32 s2, -1
	s_and_saveexec_b32 s3, s4
	s_cbranch_execz .LBB57_2
; %bb.1:
	s_wait_loadcnt_dscnt 0x0
	v_cmp_neq_f64_e32 vcc_lo, 1.0, v[6:7]
	v_cmp_neq_f64_e64 s2, 0, v[8:9]
	s_or_b32 s2, vcc_lo, s2
	s_delay_alu instid0(SALU_CYCLE_1)
	s_or_not1_b32 s2, s2, exec_lo
.LBB57_2:
	s_or_b32 exec_lo, exec_lo, s3
	s_and_saveexec_b32 s3, s2
	s_cbranch_execz .LBB57_27
; %bb.3:
	s_clause 0x1
	s_load_b32 s2, s[0:1], 0xa4
	s_load_b96 s[20:22], s[0:1], 0x0
	s_bfe_u32 s3, ttmp6, 0x4000c
	s_and_b32 s4, ttmp6, 15
	s_add_co_i32 s3, s3, 1
	s_getreg_b32 s5, hwreg(HW_REG_IB_STS2, 6, 4)
	s_mul_i32 s3, ttmp9, s3
	s_delay_alu instid0(SALU_CYCLE_1) | instskip(SKIP_4) | instid1(SALU_CYCLE_1)
	s_add_co_i32 s4, s4, s3
	s_wait_kmcnt 0x0
	s_and_b32 s2, s2, 0xffff
	s_cmp_eq_u32 s5, 0
	s_cselect_b32 s3, ttmp9, s4
	v_mad_u32 v1, s3, s2, v0
	s_delay_alu instid0(VALU_DEP_1) | instskip(NEXT) | instid1(VALU_DEP_1)
	v_lshrrev_b32_e32 v10, 4, v1
	v_cmp_gt_i32_e32 vcc_lo, s21, v10
	s_and_b32 exec_lo, exec_lo, vcc_lo
	s_cbranch_execz .LBB57_27
; %bb.4:
	s_cmp_lt_i32 s22, 1
	s_cbranch_scc1 .LBB57_27
; %bb.5:
	s_load_b256 s[4:11], s[0:1], 0x30
	v_dual_lshlrev_b32 v10, 2, v10 :: v_dual_lshrrev_b32 v12, 3, v1
	s_clause 0x1
	s_load_b128 s[12:15], s[0:1], 0x70
	s_load_b64 s[2:3], s[0:1], 0x50
	v_dual_mov_b32 v13, 0 :: v_dual_lshrrev_b32 v16, 3, v0
	s_wait_loadcnt_dscnt 0x0
	v_cmp_neq_f64_e32 vcc_lo, 0, v[6:7]
	s_wait_xcnt 0x0
	v_cmp_neq_f64_e64 s0, 0, v[8:9]
	v_bfe_u32 v1, v1, 3, 1
	v_and_b32_e32 v28, 7, v0
	s_cmp_eq_u32 s20, 0
	v_lshl_or_b32 v29, v16, 5, 0xc00
	v_mul_u32_u24_e32 v30, 0x180, v16
	v_lshlrev_b32_e32 v0, 1, v1
	v_mul_u32_u24_e32 v20, 48, v28
	s_cselect_b32 s1, -1, 0
	v_or_b32_e32 v17, 2, v1
	v_lshl_or_b32 v31, v28, 2, v29
	v_or_b32_e32 v16, 1, v0
	s_wait_kmcnt 0x0
	global_load_b64 v[10:11], v10, s[4:5]
	v_cndmask_b32_e64 v32, v1, v0, s1
	v_add_nc_u32_e32 v36, v30, v20
	v_mul_u64_e32 v[14:15], s[14:15], v[12:13]
	v_cndmask_b32_e64 v33, v17, v16, s1
	v_lshl_add_u64 v[0:1], v[12:13], 4, s[12:13]
	s_wait_xcnt 0x0
	s_mov_b32 s5, 0
	s_or_b32 s4, vcc_lo, s0
	s_cmp_lg_u32 s16, 1
	s_delay_alu instid0(VALU_DEP_3)
	v_lshl_add_u64 v[18:19], v[14:15], 4, s[12:13]
	s_cselect_b32 s12, -1, 0
	s_wait_loadcnt 0x0
	v_subrev_nc_u32_e32 v34, s17, v10
	v_subrev_nc_u32_e32 v35, s17, v11
	v_cmp_lt_i32_e64 s0, v10, v11
	s_branch .LBB57_7
.LBB57_6:                               ;   in Loop: Header=BB57_7 Depth=1
	s_wait_xcnt 0x0
	s_or_b32 exec_lo, exec_lo, s1
	s_add_co_i32 s5, s5, 8
	s_delay_alu instid0(SALU_CYCLE_1)
	s_cmp_lt_i32 s5, s22
	s_cbranch_scc0 .LBB57_27
.LBB57_7:                               ; =>This Loop Header: Depth=1
                                        ;     Child Loop BB57_10 Depth 2
                                        ;       Child Loop BB57_14 Depth 3
	v_or_b32_e32 v20, s5, v28
	v_mov_b64_e32 v[22:23], 0
	v_mov_b64_e32 v[24:25], 0
	s_delay_alu instid0(VALU_DEP_3)
	v_ashrrev_i32_e32 v21, 31, v20
	s_and_saveexec_b32 s13, s0
	s_cbranch_execz .LBB57_16
; %bb.8:                                ;   in Loop: Header=BB57_7 Depth=1
	v_mov_b64_e32 v[22:23], 0
	v_mov_b64_e32 v[24:25], 0
	v_lshl_add_u64 v[26:27], v[20:21], 4, s[10:11]
	v_mov_b32_e32 v37, v34
	s_mov_b32 s16, 0
	v_cmp_gt_i32_e32 vcc_lo, s22, v20
	s_branch .LBB57_10
.LBB57_9:                               ;   in Loop: Header=BB57_10 Depth=2
	s_or_b32 exec_lo, exec_lo, s1
	v_add_nc_u32_e32 v37, 8, v37
	s_delay_alu instid0(VALU_DEP_1) | instskip(SKIP_1) | instid1(SALU_CYCLE_1)
	v_cmp_ge_i32_e64 s1, v37, v35
	s_or_b32 s16, s1, s16
	s_and_not1_b32 exec_lo, exec_lo, s16
	s_cbranch_execz .LBB57_15
.LBB57_10:                              ;   Parent Loop BB57_7 Depth=1
                                        ; =>  This Loop Header: Depth=2
                                        ;       Child Loop BB57_14 Depth 3
	v_mov_b64_e32 v[14:15], 0
	v_mov_b64_e32 v[16:17], 0
	;; [unrolled: 1-line block ×4, first 2 shown]
	v_dual_mov_b32 v38, 0 :: v_dual_add_nc_u32 v39, v37, v28
	s_mov_b32 s18, exec_lo
	s_delay_alu instid0(VALU_DEP_1)
	v_cmpx_lt_i32_e64 v39, v35
	s_cbranch_execz .LBB57_12
; %bb.11:                               ;   in Loop: Header=BB57_10 Depth=2
	global_load_b32 v38, v39, s[6:7] scale_offset
	s_wait_loadcnt 0x0
	v_subrev_nc_u32_e32 v38, s17, v38
	s_delay_alu instid0(VALU_DEP_1) | instskip(SKIP_1) | instid1(VALU_DEP_1)
	v_dual_lshlrev_b32 v10, 2, v39 :: v_dual_lshlrev_b32 v38, 1, v38
	s_wait_xcnt 0x0
	v_or_b32_e32 v39, v10, v32
	v_or_b32_e32 v40, v10, v33
	s_clause 0x1
	global_load_b128 v[14:17], v39, s[8:9] scale_offset
	global_load_b128 v[10:13], v40, s[8:9] scale_offset
.LBB57_12:                              ;   in Loop: Header=BB57_10 Depth=2
	s_wait_xcnt 0x0
	s_or_b32 exec_lo, exec_lo, s18
	ds_store_b32 v31, v38
	s_wait_loadcnt 0x1
	ds_store_b128 v36, v[14:17]
	s_wait_loadcnt 0x0
	ds_store_b128 v36, v[10:13] offset:16
	s_wait_dscnt 0x0
	s_barrier_signal -1
	s_barrier_wait -1
	s_and_saveexec_b32 s1, vcc_lo
	s_cbranch_execz .LBB57_9
; %bb.13:                               ;   in Loop: Header=BB57_10 Depth=2
	v_mov_b32_e32 v10, v30
	s_mov_b32 s18, 0
.LBB57_14:                              ;   Parent Loop BB57_7 Depth=1
                                        ;     Parent Loop BB57_10 Depth=2
                                        ; =>    This Inner Loop Header: Depth=3
	s_delay_alu instid0(SALU_CYCLE_1) | instskip(SKIP_1) | instid1(SALU_CYCLE_1)
	v_add_nc_u32_e32 v11, s18, v29
	s_add_co_i32 s18, s18, 8
	s_cmp_lg_u32 s18, 32
	ds_load_b64 v[16:17], v11
	s_wait_dscnt 0x0
	v_dual_mov_b32 v12, v16 :: v_dual_ashrrev_i32 v13, 31, v16
	v_dual_add_nc_u32 v38, 1, v16 :: v_dual_mov_b32 v42, v17
	v_dual_add_nc_u32 v16, 1, v17 :: v_dual_ashrrev_i32 v43, 31, v17
	s_delay_alu instid0(VALU_DEP_3) | instskip(NEXT) | instid1(VALU_DEP_3)
	v_mul_u64_e32 v[12:13], s[2:3], v[12:13]
	v_ashrrev_i32_e32 v39, 31, v38
	s_delay_alu instid0(VALU_DEP_3) | instskip(NEXT) | instid1(VALU_DEP_2)
	v_mul_u64_e32 v[42:43], s[2:3], v[42:43]
	v_mul_u64_e32 v[38:39], s[2:3], v[38:39]
	s_delay_alu instid0(VALU_DEP_4) | instskip(NEXT) | instid1(VALU_DEP_3)
	v_lshl_add_u64 v[12:13], v[12:13], 4, v[26:27]
	v_lshl_add_u64 v[42:43], v[42:43], 4, v[26:27]
	global_load_b128 v[12:15], v[12:13], off
	v_lshl_add_u64 v[38:39], v[38:39], 4, v[26:27]
	v_ashrrev_i32_e32 v17, 31, v16
	s_clause 0x1
	global_load_b128 v[42:45], v[42:43], off
	global_load_b128 v[38:41], v[38:39], off
	v_mul_u64_e32 v[16:17], s[2:3], v[16:17]
	s_delay_alu instid0(VALU_DEP_1)
	v_lshl_add_u64 v[16:17], v[16:17], 4, v[26:27]
	global_load_b128 v[46:49], v[16:17], off
	ds_load_b128 v[50:53], v10
	ds_load_b128 v[54:57], v10 offset:16
	s_wait_loadcnt_dscnt 0x301
	v_fmac_f64_e32 v[24:25], v[50:51], v[12:13]
	v_fmac_f64_e32 v[22:23], v[52:53], v[12:13]
	s_wait_xcnt 0x3
	s_delay_alu instid0(VALU_DEP_2) | instskip(NEXT) | instid1(VALU_DEP_2)
	v_fma_f64 v[12:13], -v[52:53], v[14:15], v[24:25]
	v_fmac_f64_e32 v[22:23], v[50:51], v[14:15]
	s_wait_loadcnt_dscnt 0x100
	s_delay_alu instid0(VALU_DEP_2) | instskip(NEXT) | instid1(VALU_DEP_2)
	v_fmac_f64_e32 v[12:13], v[54:55], v[38:39]
	v_fmac_f64_e32 v[22:23], v[56:57], v[38:39]
	s_wait_xcnt 0x0
	s_delay_alu instid0(VALU_DEP_2) | instskip(NEXT) | instid1(VALU_DEP_2)
	v_fma_f64 v[16:17], -v[56:57], v[40:41], v[12:13]
	v_fmac_f64_e32 v[22:23], v[54:55], v[40:41]
	ds_load_b128 v[12:15], v10 offset:48
	ds_load_b128 v[38:41], v10 offset:64
	v_add_nc_u32_e32 v10, 0x60, v10
	s_wait_dscnt 0x1
	v_fmac_f64_e32 v[16:17], v[12:13], v[42:43]
	v_fmac_f64_e32 v[22:23], v[14:15], v[42:43]
	s_delay_alu instid0(VALU_DEP_2) | instskip(NEXT) | instid1(VALU_DEP_2)
	v_fma_f64 v[14:15], -v[14:15], v[44:45], v[16:17]
	v_fmac_f64_e32 v[22:23], v[12:13], v[44:45]
	s_wait_loadcnt_dscnt 0x0
	s_delay_alu instid0(VALU_DEP_2) | instskip(NEXT) | instid1(VALU_DEP_2)
	v_fmac_f64_e32 v[14:15], v[38:39], v[46:47]
	v_fmac_f64_e32 v[22:23], v[40:41], v[46:47]
	s_delay_alu instid0(VALU_DEP_2) | instskip(NEXT) | instid1(VALU_DEP_2)
	v_fma_f64 v[24:25], -v[40:41], v[48:49], v[14:15]
	v_fmac_f64_e32 v[22:23], v[38:39], v[48:49]
	s_cbranch_scc1 .LBB57_14
	s_branch .LBB57_9
.LBB57_15:                              ;   in Loop: Header=BB57_7 Depth=1
	s_or_b32 exec_lo, exec_lo, s16
.LBB57_16:                              ;   in Loop: Header=BB57_7 Depth=1
	s_delay_alu instid0(SALU_CYCLE_1) | instskip(NEXT) | instid1(SALU_CYCLE_1)
	s_or_b32 exec_lo, exec_lo, s13
	s_mov_b32 s1, exec_lo
	v_cmpx_gt_i32_e64 s22, v20
	s_cbranch_execz .LBB57_6
; %bb.17:                               ;   in Loop: Header=BB57_7 Depth=1
	s_and_saveexec_b32 s13, s4
	s_delay_alu instid0(SALU_CYCLE_1)
	s_xor_b32 s13, exec_lo, s13
	s_cbranch_execz .LBB57_22
; %bb.18:                               ;   in Loop: Header=BB57_7 Depth=1
	s_and_b32 vcc_lo, exec_lo, s12
	s_mov_b32 s16, -1
	s_cbranch_vccz .LBB57_20
; %bb.19:                               ;   in Loop: Header=BB57_7 Depth=1
	v_lshl_add_u64 v[26:27], v[20:21], 4, v[18:19]
	v_mul_f64_e64 v[14:15], v[22:23], -v[4:5]
	v_mul_f64_e32 v[16:17], v[2:3], v[22:23]
	s_mov_b32 s16, 0
	global_load_b128 v[10:13], v[26:27], off
	v_fmac_f64_e32 v[14:15], v[2:3], v[24:25]
	v_fmac_f64_e32 v[16:17], v[4:5], v[24:25]
	s_wait_loadcnt 0x0
	s_delay_alu instid0(VALU_DEP_2) | instskip(NEXT) | instid1(VALU_DEP_2)
	v_fmac_f64_e32 v[14:15], v[6:7], v[10:11]
	v_fmac_f64_e32 v[16:17], v[8:9], v[10:11]
	s_delay_alu instid0(VALU_DEP_2) | instskip(NEXT) | instid1(VALU_DEP_2)
	v_fma_f64 v[14:15], -v[8:9], v[12:13], v[14:15]
	v_fmac_f64_e32 v[16:17], v[6:7], v[12:13]
	global_store_b128 v[26:27], v[14:17], off
.LBB57_20:                              ;   in Loop: Header=BB57_7 Depth=1
	s_and_not1_b32 vcc_lo, exec_lo, s16
	s_cbranch_vccnz .LBB57_22
; %bb.21:                               ;   in Loop: Header=BB57_7 Depth=1
	v_mul_u64_e32 v[10:11], s[14:15], v[20:21]
	s_wait_xcnt 0x0
	v_mul_f64_e64 v[14:15], v[22:23], -v[4:5]
	v_mul_f64_e32 v[16:17], v[2:3], v[22:23]
                                        ; implicit-def: $vgpr22_vgpr23
	s_delay_alu instid0(VALU_DEP_3) | instskip(NEXT) | instid1(VALU_DEP_3)
	v_lshl_add_u64 v[20:21], v[10:11], 4, v[0:1]
	v_fmac_f64_e32 v[14:15], v[2:3], v[24:25]
	s_delay_alu instid0(VALU_DEP_3) | instskip(SKIP_4) | instid1(VALU_DEP_2)
	v_fmac_f64_e32 v[16:17], v[4:5], v[24:25]
                                        ; implicit-def: $vgpr24_vgpr25
	global_load_b128 v[10:13], v[20:21], off
	s_wait_loadcnt 0x0
	v_fmac_f64_e32 v[14:15], v[6:7], v[10:11]
	v_fmac_f64_e32 v[16:17], v[8:9], v[10:11]
	v_fma_f64 v[14:15], -v[8:9], v[12:13], v[14:15]
	s_delay_alu instid0(VALU_DEP_2)
	v_fmac_f64_e32 v[16:17], v[6:7], v[12:13]
	global_store_b128 v[20:21], v[14:17], off
                                        ; implicit-def: $vgpr20
.LBB57_22:                              ;   in Loop: Header=BB57_7 Depth=1
	s_wait_xcnt 0x0
	s_and_not1_saveexec_b32 s13, s13
	s_cbranch_execz .LBB57_6
; %bb.23:                               ;   in Loop: Header=BB57_7 Depth=1
	v_mul_f64_e64 v[10:11], v[22:23], -v[4:5]
	v_mul_f64_e32 v[12:13], v[2:3], v[22:23]
	s_and_b32 vcc_lo, exec_lo, s12
	s_mov_b32 s13, -1
	s_delay_alu instid0(VALU_DEP_2) | instskip(NEXT) | instid1(VALU_DEP_2)
	v_fmac_f64_e32 v[10:11], v[2:3], v[24:25]
	v_fmac_f64_e32 v[12:13], v[4:5], v[24:25]
	s_cbranch_vccz .LBB57_25
; %bb.24:                               ;   in Loop: Header=BB57_7 Depth=1
	v_lshl_add_u64 v[14:15], v[20:21], 4, v[18:19]
	s_mov_b32 s13, 0
	global_store_b128 v[14:15], v[10:13], off
.LBB57_25:                              ;   in Loop: Header=BB57_7 Depth=1
	s_and_not1_b32 vcc_lo, exec_lo, s13
	s_cbranch_vccnz .LBB57_6
; %bb.26:                               ;   in Loop: Header=BB57_7 Depth=1
	s_wait_xcnt 0x0
	v_mul_u64_e32 v[14:15], s[14:15], v[20:21]
	s_delay_alu instid0(VALU_DEP_1)
	v_lshl_add_u64 v[14:15], v[14:15], 4, v[0:1]
	global_store_b128 v[14:15], v[10:13], off
	s_branch .LBB57_6
.LBB57_27:
	s_endpgm
	.section	.rodata,"a",@progbits
	.p2align	6, 0x0
	.amdhsa_kernel _ZN9rocsparseL29bsrmmnt_small_blockdim_kernelILj64ELj8ELj2Eii21rocsparse_complex_numIdES2_S2_S2_EEv20rocsparse_direction_T3_S4_llNS_24const_host_device_scalarIT7_EEPKT2_PKS4_PKT4_PKT5_llS7_PT6_ll16rocsparse_order_21rocsparse_index_base_b
		.amdhsa_group_segment_fixed_size 3328
		.amdhsa_private_segment_fixed_size 0
		.amdhsa_kernarg_size 408
		.amdhsa_user_sgpr_count 2
		.amdhsa_user_sgpr_dispatch_ptr 0
		.amdhsa_user_sgpr_queue_ptr 0
		.amdhsa_user_sgpr_kernarg_segment_ptr 1
		.amdhsa_user_sgpr_dispatch_id 0
		.amdhsa_user_sgpr_kernarg_preload_length 0
		.amdhsa_user_sgpr_kernarg_preload_offset 0
		.amdhsa_user_sgpr_private_segment_size 0
		.amdhsa_wavefront_size32 1
		.amdhsa_uses_dynamic_stack 0
		.amdhsa_enable_private_segment 0
		.amdhsa_system_sgpr_workgroup_id_x 1
		.amdhsa_system_sgpr_workgroup_id_y 0
		.amdhsa_system_sgpr_workgroup_id_z 0
		.amdhsa_system_sgpr_workgroup_info 0
		.amdhsa_system_vgpr_workitem_id 0
		.amdhsa_next_free_vgpr 58
		.amdhsa_next_free_sgpr 23
		.amdhsa_named_barrier_count 0
		.amdhsa_reserve_vcc 1
		.amdhsa_float_round_mode_32 0
		.amdhsa_float_round_mode_16_64 0
		.amdhsa_float_denorm_mode_32 3
		.amdhsa_float_denorm_mode_16_64 3
		.amdhsa_fp16_overflow 0
		.amdhsa_memory_ordered 1
		.amdhsa_forward_progress 1
		.amdhsa_inst_pref_size 13
		.amdhsa_round_robin_scheduling 0
		.amdhsa_exception_fp_ieee_invalid_op 0
		.amdhsa_exception_fp_denorm_src 0
		.amdhsa_exception_fp_ieee_div_zero 0
		.amdhsa_exception_fp_ieee_overflow 0
		.amdhsa_exception_fp_ieee_underflow 0
		.amdhsa_exception_fp_ieee_inexact 0
		.amdhsa_exception_int_div_zero 0
	.end_amdhsa_kernel
	.section	.text._ZN9rocsparseL29bsrmmnt_small_blockdim_kernelILj64ELj8ELj2Eii21rocsparse_complex_numIdES2_S2_S2_EEv20rocsparse_direction_T3_S4_llNS_24const_host_device_scalarIT7_EEPKT2_PKS4_PKT4_PKT5_llS7_PT6_ll16rocsparse_order_21rocsparse_index_base_b,"axG",@progbits,_ZN9rocsparseL29bsrmmnt_small_blockdim_kernelILj64ELj8ELj2Eii21rocsparse_complex_numIdES2_S2_S2_EEv20rocsparse_direction_T3_S4_llNS_24const_host_device_scalarIT7_EEPKT2_PKS4_PKT4_PKT5_llS7_PT6_ll16rocsparse_order_21rocsparse_index_base_b,comdat
.Lfunc_end57:
	.size	_ZN9rocsparseL29bsrmmnt_small_blockdim_kernelILj64ELj8ELj2Eii21rocsparse_complex_numIdES2_S2_S2_EEv20rocsparse_direction_T3_S4_llNS_24const_host_device_scalarIT7_EEPKT2_PKS4_PKT4_PKT5_llS7_PT6_ll16rocsparse_order_21rocsparse_index_base_b, .Lfunc_end57-_ZN9rocsparseL29bsrmmnt_small_blockdim_kernelILj64ELj8ELj2Eii21rocsparse_complex_numIdES2_S2_S2_EEv20rocsparse_direction_T3_S4_llNS_24const_host_device_scalarIT7_EEPKT2_PKS4_PKT4_PKT5_llS7_PT6_ll16rocsparse_order_21rocsparse_index_base_b
                                        ; -- End function
	.set _ZN9rocsparseL29bsrmmnt_small_blockdim_kernelILj64ELj8ELj2Eii21rocsparse_complex_numIdES2_S2_S2_EEv20rocsparse_direction_T3_S4_llNS_24const_host_device_scalarIT7_EEPKT2_PKS4_PKT4_PKT5_llS7_PT6_ll16rocsparse_order_21rocsparse_index_base_b.num_vgpr, 58
	.set _ZN9rocsparseL29bsrmmnt_small_blockdim_kernelILj64ELj8ELj2Eii21rocsparse_complex_numIdES2_S2_S2_EEv20rocsparse_direction_T3_S4_llNS_24const_host_device_scalarIT7_EEPKT2_PKS4_PKT4_PKT5_llS7_PT6_ll16rocsparse_order_21rocsparse_index_base_b.num_agpr, 0
	.set _ZN9rocsparseL29bsrmmnt_small_blockdim_kernelILj64ELj8ELj2Eii21rocsparse_complex_numIdES2_S2_S2_EEv20rocsparse_direction_T3_S4_llNS_24const_host_device_scalarIT7_EEPKT2_PKS4_PKT4_PKT5_llS7_PT6_ll16rocsparse_order_21rocsparse_index_base_b.numbered_sgpr, 23
	.set _ZN9rocsparseL29bsrmmnt_small_blockdim_kernelILj64ELj8ELj2Eii21rocsparse_complex_numIdES2_S2_S2_EEv20rocsparse_direction_T3_S4_llNS_24const_host_device_scalarIT7_EEPKT2_PKS4_PKT4_PKT5_llS7_PT6_ll16rocsparse_order_21rocsparse_index_base_b.num_named_barrier, 0
	.set _ZN9rocsparseL29bsrmmnt_small_blockdim_kernelILj64ELj8ELj2Eii21rocsparse_complex_numIdES2_S2_S2_EEv20rocsparse_direction_T3_S4_llNS_24const_host_device_scalarIT7_EEPKT2_PKS4_PKT4_PKT5_llS7_PT6_ll16rocsparse_order_21rocsparse_index_base_b.private_seg_size, 0
	.set _ZN9rocsparseL29bsrmmnt_small_blockdim_kernelILj64ELj8ELj2Eii21rocsparse_complex_numIdES2_S2_S2_EEv20rocsparse_direction_T3_S4_llNS_24const_host_device_scalarIT7_EEPKT2_PKS4_PKT4_PKT5_llS7_PT6_ll16rocsparse_order_21rocsparse_index_base_b.uses_vcc, 1
	.set _ZN9rocsparseL29bsrmmnt_small_blockdim_kernelILj64ELj8ELj2Eii21rocsparse_complex_numIdES2_S2_S2_EEv20rocsparse_direction_T3_S4_llNS_24const_host_device_scalarIT7_EEPKT2_PKS4_PKT4_PKT5_llS7_PT6_ll16rocsparse_order_21rocsparse_index_base_b.uses_flat_scratch, 0
	.set _ZN9rocsparseL29bsrmmnt_small_blockdim_kernelILj64ELj8ELj2Eii21rocsparse_complex_numIdES2_S2_S2_EEv20rocsparse_direction_T3_S4_llNS_24const_host_device_scalarIT7_EEPKT2_PKS4_PKT4_PKT5_llS7_PT6_ll16rocsparse_order_21rocsparse_index_base_b.has_dyn_sized_stack, 0
	.set _ZN9rocsparseL29bsrmmnt_small_blockdim_kernelILj64ELj8ELj2Eii21rocsparse_complex_numIdES2_S2_S2_EEv20rocsparse_direction_T3_S4_llNS_24const_host_device_scalarIT7_EEPKT2_PKS4_PKT4_PKT5_llS7_PT6_ll16rocsparse_order_21rocsparse_index_base_b.has_recursion, 0
	.set _ZN9rocsparseL29bsrmmnt_small_blockdim_kernelILj64ELj8ELj2Eii21rocsparse_complex_numIdES2_S2_S2_EEv20rocsparse_direction_T3_S4_llNS_24const_host_device_scalarIT7_EEPKT2_PKS4_PKT4_PKT5_llS7_PT6_ll16rocsparse_order_21rocsparse_index_base_b.has_indirect_call, 0
	.section	.AMDGPU.csdata,"",@progbits
; Kernel info:
; codeLenInByte = 1552
; TotalNumSgprs: 25
; NumVgprs: 58
; ScratchSize: 0
; MemoryBound: 0
; FloatMode: 240
; IeeeMode: 1
; LDSByteSize: 3328 bytes/workgroup (compile time only)
; SGPRBlocks: 0
; VGPRBlocks: 3
; NumSGPRsForWavesPerEU: 25
; NumVGPRsForWavesPerEU: 58
; NamedBarCnt: 0
; Occupancy: 16
; WaveLimiterHint : 0
; COMPUTE_PGM_RSRC2:SCRATCH_EN: 0
; COMPUTE_PGM_RSRC2:USER_SGPR: 2
; COMPUTE_PGM_RSRC2:TRAP_HANDLER: 0
; COMPUTE_PGM_RSRC2:TGID_X_EN: 1
; COMPUTE_PGM_RSRC2:TGID_Y_EN: 0
; COMPUTE_PGM_RSRC2:TGID_Z_EN: 0
; COMPUTE_PGM_RSRC2:TIDIG_COMP_CNT: 0
	.section	.text._ZN9rocsparseL29bsrmmnt_small_blockdim_kernelILj64ELj16ELj2Eii21rocsparse_complex_numIdES2_S2_S2_EEv20rocsparse_direction_T3_S4_llNS_24const_host_device_scalarIT7_EEPKT2_PKS4_PKT4_PKT5_llS7_PT6_ll16rocsparse_order_21rocsparse_index_base_b,"axG",@progbits,_ZN9rocsparseL29bsrmmnt_small_blockdim_kernelILj64ELj16ELj2Eii21rocsparse_complex_numIdES2_S2_S2_EEv20rocsparse_direction_T3_S4_llNS_24const_host_device_scalarIT7_EEPKT2_PKS4_PKT4_PKT5_llS7_PT6_ll16rocsparse_order_21rocsparse_index_base_b,comdat
	.globl	_ZN9rocsparseL29bsrmmnt_small_blockdim_kernelILj64ELj16ELj2Eii21rocsparse_complex_numIdES2_S2_S2_EEv20rocsparse_direction_T3_S4_llNS_24const_host_device_scalarIT7_EEPKT2_PKS4_PKT4_PKT5_llS7_PT6_ll16rocsparse_order_21rocsparse_index_base_b ; -- Begin function _ZN9rocsparseL29bsrmmnt_small_blockdim_kernelILj64ELj16ELj2Eii21rocsparse_complex_numIdES2_S2_S2_EEv20rocsparse_direction_T3_S4_llNS_24const_host_device_scalarIT7_EEPKT2_PKS4_PKT4_PKT5_llS7_PT6_ll16rocsparse_order_21rocsparse_index_base_b
	.p2align	8
	.type	_ZN9rocsparseL29bsrmmnt_small_blockdim_kernelILj64ELj16ELj2Eii21rocsparse_complex_numIdES2_S2_S2_EEv20rocsparse_direction_T3_S4_llNS_24const_host_device_scalarIT7_EEPKT2_PKS4_PKT4_PKT5_llS7_PT6_ll16rocsparse_order_21rocsparse_index_base_b,@function
_ZN9rocsparseL29bsrmmnt_small_blockdim_kernelILj64ELj16ELj2Eii21rocsparse_complex_numIdES2_S2_S2_EEv20rocsparse_direction_T3_S4_llNS_24const_host_device_scalarIT7_EEPKT2_PKS4_PKT4_PKT5_llS7_PT6_ll16rocsparse_order_21rocsparse_index_base_b: ; @_ZN9rocsparseL29bsrmmnt_small_blockdim_kernelILj64ELj16ELj2Eii21rocsparse_complex_numIdES2_S2_S2_EEv20rocsparse_direction_T3_S4_llNS_24const_host_device_scalarIT7_EEPKT2_PKS4_PKT4_PKT5_llS7_PT6_ll16rocsparse_order_21rocsparse_index_base_b
; %bb.0:
	s_clause 0x1
	s_load_b96 s[16:18], s[0:1], 0x88
	s_load_b64 s[2:3], s[0:1], 0x20
	v_mov_b32_e32 v1, 0
	s_add_nc_u64 s[4:5], s[0:1], 32
	s_load_b64 s[6:7], s[0:1], 0x60
	s_wait_kmcnt 0x0
	s_bitcmp1_b32 s18, 0
	s_cselect_b32 s3, s5, s3
	s_cselect_b32 s2, s4, s2
	flat_load_b128 v[2:5], v1, s[2:3]
	s_wait_xcnt 0x0
	s_add_nc_u64 s[2:3], s[0:1], 0x60
	s_delay_alu instid0(SALU_CYCLE_1)
	s_cselect_b32 s3, s3, s7
	s_cselect_b32 s2, s2, s6
	flat_load_b128 v[6:9], v1, s[2:3]
	s_wait_loadcnt_dscnt 0x101
	v_cmp_eq_f64_e32 vcc_lo, 0, v[2:3]
	s_wait_xcnt 0x0
	v_cmp_eq_f64_e64 s2, 0, v[4:5]
	s_and_b32 s4, vcc_lo, s2
	s_mov_b32 s2, -1
	s_and_saveexec_b32 s3, s4
	s_cbranch_execz .LBB58_2
; %bb.1:
	s_wait_loadcnt_dscnt 0x0
	v_cmp_neq_f64_e32 vcc_lo, 1.0, v[6:7]
	v_cmp_neq_f64_e64 s2, 0, v[8:9]
	s_or_b32 s2, vcc_lo, s2
	s_delay_alu instid0(SALU_CYCLE_1)
	s_or_not1_b32 s2, s2, exec_lo
.LBB58_2:
	s_or_b32 exec_lo, exec_lo, s3
	s_and_saveexec_b32 s3, s2
	s_cbranch_execz .LBB58_27
; %bb.3:
	s_clause 0x1
	s_load_b32 s2, s[0:1], 0xa4
	s_load_b96 s[20:22], s[0:1], 0x0
	s_bfe_u32 s3, ttmp6, 0x4000c
	s_and_b32 s4, ttmp6, 15
	s_add_co_i32 s3, s3, 1
	s_getreg_b32 s5, hwreg(HW_REG_IB_STS2, 6, 4)
	s_mul_i32 s3, ttmp9, s3
	s_delay_alu instid0(SALU_CYCLE_1) | instskip(SKIP_4) | instid1(SALU_CYCLE_1)
	s_add_co_i32 s4, s4, s3
	s_wait_kmcnt 0x0
	s_and_b32 s2, s2, 0xffff
	s_cmp_eq_u32 s5, 0
	s_cselect_b32 s3, ttmp9, s4
	v_mad_u32 v1, s3, s2, v0
	s_delay_alu instid0(VALU_DEP_1) | instskip(NEXT) | instid1(VALU_DEP_1)
	v_lshrrev_b32_e32 v10, 5, v1
	v_cmp_gt_i32_e32 vcc_lo, s21, v10
	s_and_b32 exec_lo, exec_lo, vcc_lo
	s_cbranch_execz .LBB58_27
; %bb.4:
	s_cmp_lt_i32 s22, 1
	s_cbranch_scc1 .LBB58_27
; %bb.5:
	s_load_b256 s[4:11], s[0:1], 0x30
	v_dual_lshlrev_b32 v10, 2, v10 :: v_dual_lshrrev_b32 v12, 4, v1
	s_clause 0x1
	s_load_b128 s[12:15], s[0:1], 0x70
	s_load_b64 s[2:3], s[0:1], 0x50
	v_mov_b32_e32 v13, 0
	s_wait_loadcnt_dscnt 0x0
	v_cmp_neq_f64_e32 vcc_lo, 0, v[6:7]
	s_wait_xcnt 0x0
	v_cmp_neq_f64_e64 s0, 0, v[8:9]
	v_bfe_u32 v16, v1, 4, 1
	s_cmp_eq_u32 s20, 0
	s_cselect_b32 s1, -1, 0
	v_and_b32_e32 v28, 15, v0
	s_delay_alu instid0(VALU_DEP_2)
	v_or_b32_e32 v17, 2, v16
	s_wait_kmcnt 0x0
	global_load_b64 v[10:11], v10, s[4:5]
	s_wait_xcnt 0x0
	s_mov_b32 s5, 0
	v_mul_u64_e32 v[14:15], s[14:15], v[12:13]
	v_lshrrev_b32_e32 v12, 4, v0
	v_lshlrev_b32_e32 v0, 1, v16
	s_delay_alu instid0(VALU_DEP_2) | instskip(SKIP_1) | instid1(VALU_DEP_3)
	v_lshl_or_b32 v29, v12, 6, 0xc00
	v_mul_u32_u24_e32 v30, 0x300, v12
	v_or_b32_e32 v18, 1, v0
	v_dual_cndmask_b32 v32, v16, v0, s1 :: v_dual_bitop2_b32 v12, -16, v1 bitop3:0x40
	v_mul_u32_u24_e32 v20, 48, v28
	v_lshl_or_b32 v31, v28, 2, v29
	s_delay_alu instid0(VALU_DEP_4) | instskip(NEXT) | instid1(VALU_DEP_4)
	v_cndmask_b32_e64 v33, v17, v18, s1
	v_add_nc_u64_e32 v[0:1], s[12:13], v[12:13]
	s_or_b32 s4, vcc_lo, s0
	v_add_nc_u32_e32 v36, v30, v20
	s_cmp_lg_u32 s16, 1
	v_lshl_add_u64 v[18:19], v[14:15], 4, s[12:13]
	s_cselect_b32 s12, -1, 0
	s_wait_loadcnt 0x0
	v_subrev_nc_u32_e32 v34, s17, v10
	v_subrev_nc_u32_e32 v35, s17, v11
	v_cmp_lt_i32_e64 s0, v10, v11
	s_branch .LBB58_7
.LBB58_6:                               ;   in Loop: Header=BB58_7 Depth=1
	s_wait_xcnt 0x0
	s_or_b32 exec_lo, exec_lo, s1
	s_add_co_i32 s5, s5, 16
	s_delay_alu instid0(SALU_CYCLE_1)
	s_cmp_lt_i32 s5, s22
	s_cbranch_scc0 .LBB58_27
.LBB58_7:                               ; =>This Loop Header: Depth=1
                                        ;     Child Loop BB58_10 Depth 2
                                        ;       Child Loop BB58_14 Depth 3
	v_or_b32_e32 v20, s5, v28
	v_mov_b64_e32 v[22:23], 0
	v_mov_b64_e32 v[24:25], 0
	s_delay_alu instid0(VALU_DEP_3)
	v_ashrrev_i32_e32 v21, 31, v20
	s_and_saveexec_b32 s13, s0
	s_cbranch_execz .LBB58_16
; %bb.8:                                ;   in Loop: Header=BB58_7 Depth=1
	v_mov_b64_e32 v[22:23], 0
	v_mov_b64_e32 v[24:25], 0
	v_lshl_add_u64 v[26:27], v[20:21], 4, s[10:11]
	v_mov_b32_e32 v37, v34
	s_mov_b32 s16, 0
	v_cmp_gt_i32_e32 vcc_lo, s22, v20
	s_branch .LBB58_10
.LBB58_9:                               ;   in Loop: Header=BB58_10 Depth=2
	s_or_b32 exec_lo, exec_lo, s1
	v_add_nc_u32_e32 v37, 16, v37
	s_delay_alu instid0(VALU_DEP_1) | instskip(SKIP_1) | instid1(SALU_CYCLE_1)
	v_cmp_ge_i32_e64 s1, v37, v35
	s_or_b32 s16, s1, s16
	s_and_not1_b32 exec_lo, exec_lo, s16
	s_cbranch_execz .LBB58_15
.LBB58_10:                              ;   Parent Loop BB58_7 Depth=1
                                        ; =>  This Loop Header: Depth=2
                                        ;       Child Loop BB58_14 Depth 3
	v_mov_b64_e32 v[14:15], 0
	v_mov_b64_e32 v[16:17], 0
	;; [unrolled: 1-line block ×4, first 2 shown]
	v_dual_mov_b32 v38, 0 :: v_dual_add_nc_u32 v39, v37, v28
	s_mov_b32 s18, exec_lo
	s_delay_alu instid0(VALU_DEP_1)
	v_cmpx_lt_i32_e64 v39, v35
	s_cbranch_execz .LBB58_12
; %bb.11:                               ;   in Loop: Header=BB58_10 Depth=2
	global_load_b32 v38, v39, s[6:7] scale_offset
	s_wait_loadcnt 0x0
	v_subrev_nc_u32_e32 v38, s17, v38
	s_delay_alu instid0(VALU_DEP_1) | instskip(SKIP_1) | instid1(VALU_DEP_1)
	v_dual_lshlrev_b32 v10, 2, v39 :: v_dual_lshlrev_b32 v38, 1, v38
	s_wait_xcnt 0x0
	v_or_b32_e32 v39, v10, v32
	v_or_b32_e32 v40, v10, v33
	s_clause 0x1
	global_load_b128 v[14:17], v39, s[8:9] scale_offset
	global_load_b128 v[10:13], v40, s[8:9] scale_offset
.LBB58_12:                              ;   in Loop: Header=BB58_10 Depth=2
	s_wait_xcnt 0x0
	s_or_b32 exec_lo, exec_lo, s18
	ds_store_b32 v31, v38
	s_wait_loadcnt 0x1
	ds_store_b128 v36, v[14:17]
	s_wait_loadcnt 0x0
	ds_store_b128 v36, v[10:13] offset:16
	s_wait_dscnt 0x0
	s_barrier_signal -1
	s_barrier_wait -1
	s_and_saveexec_b32 s1, vcc_lo
	s_cbranch_execz .LBB58_9
; %bb.13:                               ;   in Loop: Header=BB58_10 Depth=2
	v_mov_b32_e32 v10, v30
	s_mov_b32 s18, 0
.LBB58_14:                              ;   Parent Loop BB58_7 Depth=1
                                        ;     Parent Loop BB58_10 Depth=2
                                        ; =>    This Inner Loop Header: Depth=3
	s_delay_alu instid0(SALU_CYCLE_1) | instskip(SKIP_1) | instid1(SALU_CYCLE_1)
	v_add_nc_u32_e32 v11, s18, v29
	s_add_co_i32 s18, s18, 8
	s_cmp_lg_u32 s18, 64
	ds_load_b64 v[16:17], v11
	s_wait_dscnt 0x0
	v_dual_mov_b32 v12, v16 :: v_dual_ashrrev_i32 v13, 31, v16
	v_dual_add_nc_u32 v38, 1, v16 :: v_dual_mov_b32 v42, v17
	v_dual_add_nc_u32 v16, 1, v17 :: v_dual_ashrrev_i32 v43, 31, v17
	s_delay_alu instid0(VALU_DEP_3) | instskip(NEXT) | instid1(VALU_DEP_3)
	v_mul_u64_e32 v[12:13], s[2:3], v[12:13]
	v_ashrrev_i32_e32 v39, 31, v38
	s_delay_alu instid0(VALU_DEP_3) | instskip(NEXT) | instid1(VALU_DEP_2)
	v_mul_u64_e32 v[42:43], s[2:3], v[42:43]
	v_mul_u64_e32 v[38:39], s[2:3], v[38:39]
	s_delay_alu instid0(VALU_DEP_4) | instskip(NEXT) | instid1(VALU_DEP_3)
	v_lshl_add_u64 v[12:13], v[12:13], 4, v[26:27]
	v_lshl_add_u64 v[42:43], v[42:43], 4, v[26:27]
	global_load_b128 v[12:15], v[12:13], off
	v_lshl_add_u64 v[38:39], v[38:39], 4, v[26:27]
	v_ashrrev_i32_e32 v17, 31, v16
	s_clause 0x1
	global_load_b128 v[42:45], v[42:43], off
	global_load_b128 v[38:41], v[38:39], off
	v_mul_u64_e32 v[16:17], s[2:3], v[16:17]
	s_delay_alu instid0(VALU_DEP_1)
	v_lshl_add_u64 v[16:17], v[16:17], 4, v[26:27]
	global_load_b128 v[46:49], v[16:17], off
	ds_load_b128 v[50:53], v10
	ds_load_b128 v[54:57], v10 offset:16
	s_wait_loadcnt_dscnt 0x301
	v_fmac_f64_e32 v[24:25], v[50:51], v[12:13]
	v_fmac_f64_e32 v[22:23], v[52:53], v[12:13]
	s_wait_xcnt 0x3
	s_delay_alu instid0(VALU_DEP_2) | instskip(NEXT) | instid1(VALU_DEP_2)
	v_fma_f64 v[12:13], -v[52:53], v[14:15], v[24:25]
	v_fmac_f64_e32 v[22:23], v[50:51], v[14:15]
	s_wait_loadcnt_dscnt 0x100
	s_delay_alu instid0(VALU_DEP_2) | instskip(NEXT) | instid1(VALU_DEP_2)
	v_fmac_f64_e32 v[12:13], v[54:55], v[38:39]
	v_fmac_f64_e32 v[22:23], v[56:57], v[38:39]
	s_wait_xcnt 0x0
	s_delay_alu instid0(VALU_DEP_2) | instskip(NEXT) | instid1(VALU_DEP_2)
	v_fma_f64 v[16:17], -v[56:57], v[40:41], v[12:13]
	v_fmac_f64_e32 v[22:23], v[54:55], v[40:41]
	ds_load_b128 v[12:15], v10 offset:48
	ds_load_b128 v[38:41], v10 offset:64
	v_add_nc_u32_e32 v10, 0x60, v10
	s_wait_dscnt 0x1
	v_fmac_f64_e32 v[16:17], v[12:13], v[42:43]
	v_fmac_f64_e32 v[22:23], v[14:15], v[42:43]
	s_delay_alu instid0(VALU_DEP_2) | instskip(NEXT) | instid1(VALU_DEP_2)
	v_fma_f64 v[14:15], -v[14:15], v[44:45], v[16:17]
	v_fmac_f64_e32 v[22:23], v[12:13], v[44:45]
	s_wait_loadcnt_dscnt 0x0
	s_delay_alu instid0(VALU_DEP_2) | instskip(NEXT) | instid1(VALU_DEP_2)
	v_fmac_f64_e32 v[14:15], v[38:39], v[46:47]
	v_fmac_f64_e32 v[22:23], v[40:41], v[46:47]
	s_delay_alu instid0(VALU_DEP_2) | instskip(NEXT) | instid1(VALU_DEP_2)
	v_fma_f64 v[24:25], -v[40:41], v[48:49], v[14:15]
	v_fmac_f64_e32 v[22:23], v[38:39], v[48:49]
	s_cbranch_scc1 .LBB58_14
	s_branch .LBB58_9
.LBB58_15:                              ;   in Loop: Header=BB58_7 Depth=1
	s_or_b32 exec_lo, exec_lo, s16
.LBB58_16:                              ;   in Loop: Header=BB58_7 Depth=1
	s_delay_alu instid0(SALU_CYCLE_1) | instskip(NEXT) | instid1(SALU_CYCLE_1)
	s_or_b32 exec_lo, exec_lo, s13
	s_mov_b32 s1, exec_lo
	v_cmpx_gt_i32_e64 s22, v20
	s_cbranch_execz .LBB58_6
; %bb.17:                               ;   in Loop: Header=BB58_7 Depth=1
	s_and_saveexec_b32 s13, s4
	s_delay_alu instid0(SALU_CYCLE_1)
	s_xor_b32 s13, exec_lo, s13
	s_cbranch_execz .LBB58_22
; %bb.18:                               ;   in Loop: Header=BB58_7 Depth=1
	s_and_b32 vcc_lo, exec_lo, s12
	s_mov_b32 s16, -1
	s_cbranch_vccz .LBB58_20
; %bb.19:                               ;   in Loop: Header=BB58_7 Depth=1
	v_lshl_add_u64 v[26:27], v[20:21], 4, v[18:19]
	v_mul_f64_e64 v[14:15], v[22:23], -v[4:5]
	v_mul_f64_e32 v[16:17], v[2:3], v[22:23]
	s_mov_b32 s16, 0
	global_load_b128 v[10:13], v[26:27], off
	v_fmac_f64_e32 v[14:15], v[2:3], v[24:25]
	v_fmac_f64_e32 v[16:17], v[4:5], v[24:25]
	s_wait_loadcnt 0x0
	s_delay_alu instid0(VALU_DEP_2) | instskip(NEXT) | instid1(VALU_DEP_2)
	v_fmac_f64_e32 v[14:15], v[6:7], v[10:11]
	v_fmac_f64_e32 v[16:17], v[8:9], v[10:11]
	s_delay_alu instid0(VALU_DEP_2) | instskip(NEXT) | instid1(VALU_DEP_2)
	v_fma_f64 v[14:15], -v[8:9], v[12:13], v[14:15]
	v_fmac_f64_e32 v[16:17], v[6:7], v[12:13]
	global_store_b128 v[26:27], v[14:17], off
.LBB58_20:                              ;   in Loop: Header=BB58_7 Depth=1
	s_and_not1_b32 vcc_lo, exec_lo, s16
	s_cbranch_vccnz .LBB58_22
; %bb.21:                               ;   in Loop: Header=BB58_7 Depth=1
	v_mul_u64_e32 v[10:11], s[14:15], v[20:21]
	s_wait_xcnt 0x0
	v_mul_f64_e64 v[14:15], v[22:23], -v[4:5]
	v_mul_f64_e32 v[16:17], v[2:3], v[22:23]
                                        ; implicit-def: $vgpr22_vgpr23
	s_delay_alu instid0(VALU_DEP_3) | instskip(NEXT) | instid1(VALU_DEP_3)
	v_lshl_add_u64 v[20:21], v[10:11], 4, v[0:1]
	v_fmac_f64_e32 v[14:15], v[2:3], v[24:25]
	s_delay_alu instid0(VALU_DEP_3) | instskip(SKIP_4) | instid1(VALU_DEP_2)
	v_fmac_f64_e32 v[16:17], v[4:5], v[24:25]
                                        ; implicit-def: $vgpr24_vgpr25
	global_load_b128 v[10:13], v[20:21], off
	s_wait_loadcnt 0x0
	v_fmac_f64_e32 v[14:15], v[6:7], v[10:11]
	v_fmac_f64_e32 v[16:17], v[8:9], v[10:11]
	v_fma_f64 v[14:15], -v[8:9], v[12:13], v[14:15]
	s_delay_alu instid0(VALU_DEP_2)
	v_fmac_f64_e32 v[16:17], v[6:7], v[12:13]
	global_store_b128 v[20:21], v[14:17], off
                                        ; implicit-def: $vgpr20
.LBB58_22:                              ;   in Loop: Header=BB58_7 Depth=1
	s_wait_xcnt 0x0
	s_and_not1_saveexec_b32 s13, s13
	s_cbranch_execz .LBB58_6
; %bb.23:                               ;   in Loop: Header=BB58_7 Depth=1
	v_mul_f64_e64 v[10:11], v[22:23], -v[4:5]
	v_mul_f64_e32 v[12:13], v[2:3], v[22:23]
	s_and_b32 vcc_lo, exec_lo, s12
	s_mov_b32 s13, -1
	s_delay_alu instid0(VALU_DEP_2) | instskip(NEXT) | instid1(VALU_DEP_2)
	v_fmac_f64_e32 v[10:11], v[2:3], v[24:25]
	v_fmac_f64_e32 v[12:13], v[4:5], v[24:25]
	s_cbranch_vccz .LBB58_25
; %bb.24:                               ;   in Loop: Header=BB58_7 Depth=1
	v_lshl_add_u64 v[14:15], v[20:21], 4, v[18:19]
	s_mov_b32 s13, 0
	global_store_b128 v[14:15], v[10:13], off
.LBB58_25:                              ;   in Loop: Header=BB58_7 Depth=1
	s_and_not1_b32 vcc_lo, exec_lo, s13
	s_cbranch_vccnz .LBB58_6
; %bb.26:                               ;   in Loop: Header=BB58_7 Depth=1
	s_wait_xcnt 0x0
	v_mul_u64_e32 v[14:15], s[14:15], v[20:21]
	s_delay_alu instid0(VALU_DEP_1)
	v_lshl_add_u64 v[14:15], v[14:15], 4, v[0:1]
	global_store_b128 v[14:15], v[10:13], off
	s_branch .LBB58_6
.LBB58_27:
	s_endpgm
	.section	.rodata,"a",@progbits
	.p2align	6, 0x0
	.amdhsa_kernel _ZN9rocsparseL29bsrmmnt_small_blockdim_kernelILj64ELj16ELj2Eii21rocsparse_complex_numIdES2_S2_S2_EEv20rocsparse_direction_T3_S4_llNS_24const_host_device_scalarIT7_EEPKT2_PKS4_PKT4_PKT5_llS7_PT6_ll16rocsparse_order_21rocsparse_index_base_b
		.amdhsa_group_segment_fixed_size 3328
		.amdhsa_private_segment_fixed_size 0
		.amdhsa_kernarg_size 408
		.amdhsa_user_sgpr_count 2
		.amdhsa_user_sgpr_dispatch_ptr 0
		.amdhsa_user_sgpr_queue_ptr 0
		.amdhsa_user_sgpr_kernarg_segment_ptr 1
		.amdhsa_user_sgpr_dispatch_id 0
		.amdhsa_user_sgpr_kernarg_preload_length 0
		.amdhsa_user_sgpr_kernarg_preload_offset 0
		.amdhsa_user_sgpr_private_segment_size 0
		.amdhsa_wavefront_size32 1
		.amdhsa_uses_dynamic_stack 0
		.amdhsa_enable_private_segment 0
		.amdhsa_system_sgpr_workgroup_id_x 1
		.amdhsa_system_sgpr_workgroup_id_y 0
		.amdhsa_system_sgpr_workgroup_id_z 0
		.amdhsa_system_sgpr_workgroup_info 0
		.amdhsa_system_vgpr_workitem_id 0
		.amdhsa_next_free_vgpr 58
		.amdhsa_next_free_sgpr 23
		.amdhsa_named_barrier_count 0
		.amdhsa_reserve_vcc 1
		.amdhsa_float_round_mode_32 0
		.amdhsa_float_round_mode_16_64 0
		.amdhsa_float_denorm_mode_32 3
		.amdhsa_float_denorm_mode_16_64 3
		.amdhsa_fp16_overflow 0
		.amdhsa_memory_ordered 1
		.amdhsa_forward_progress 1
		.amdhsa_inst_pref_size 13
		.amdhsa_round_robin_scheduling 0
		.amdhsa_exception_fp_ieee_invalid_op 0
		.amdhsa_exception_fp_denorm_src 0
		.amdhsa_exception_fp_ieee_div_zero 0
		.amdhsa_exception_fp_ieee_overflow 0
		.amdhsa_exception_fp_ieee_underflow 0
		.amdhsa_exception_fp_ieee_inexact 0
		.amdhsa_exception_int_div_zero 0
	.end_amdhsa_kernel
	.section	.text._ZN9rocsparseL29bsrmmnt_small_blockdim_kernelILj64ELj16ELj2Eii21rocsparse_complex_numIdES2_S2_S2_EEv20rocsparse_direction_T3_S4_llNS_24const_host_device_scalarIT7_EEPKT2_PKS4_PKT4_PKT5_llS7_PT6_ll16rocsparse_order_21rocsparse_index_base_b,"axG",@progbits,_ZN9rocsparseL29bsrmmnt_small_blockdim_kernelILj64ELj16ELj2Eii21rocsparse_complex_numIdES2_S2_S2_EEv20rocsparse_direction_T3_S4_llNS_24const_host_device_scalarIT7_EEPKT2_PKS4_PKT4_PKT5_llS7_PT6_ll16rocsparse_order_21rocsparse_index_base_b,comdat
.Lfunc_end58:
	.size	_ZN9rocsparseL29bsrmmnt_small_blockdim_kernelILj64ELj16ELj2Eii21rocsparse_complex_numIdES2_S2_S2_EEv20rocsparse_direction_T3_S4_llNS_24const_host_device_scalarIT7_EEPKT2_PKS4_PKT4_PKT5_llS7_PT6_ll16rocsparse_order_21rocsparse_index_base_b, .Lfunc_end58-_ZN9rocsparseL29bsrmmnt_small_blockdim_kernelILj64ELj16ELj2Eii21rocsparse_complex_numIdES2_S2_S2_EEv20rocsparse_direction_T3_S4_llNS_24const_host_device_scalarIT7_EEPKT2_PKS4_PKT4_PKT5_llS7_PT6_ll16rocsparse_order_21rocsparse_index_base_b
                                        ; -- End function
	.set _ZN9rocsparseL29bsrmmnt_small_blockdim_kernelILj64ELj16ELj2Eii21rocsparse_complex_numIdES2_S2_S2_EEv20rocsparse_direction_T3_S4_llNS_24const_host_device_scalarIT7_EEPKT2_PKS4_PKT4_PKT5_llS7_PT6_ll16rocsparse_order_21rocsparse_index_base_b.num_vgpr, 58
	.set _ZN9rocsparseL29bsrmmnt_small_blockdim_kernelILj64ELj16ELj2Eii21rocsparse_complex_numIdES2_S2_S2_EEv20rocsparse_direction_T3_S4_llNS_24const_host_device_scalarIT7_EEPKT2_PKS4_PKT4_PKT5_llS7_PT6_ll16rocsparse_order_21rocsparse_index_base_b.num_agpr, 0
	.set _ZN9rocsparseL29bsrmmnt_small_blockdim_kernelILj64ELj16ELj2Eii21rocsparse_complex_numIdES2_S2_S2_EEv20rocsparse_direction_T3_S4_llNS_24const_host_device_scalarIT7_EEPKT2_PKS4_PKT4_PKT5_llS7_PT6_ll16rocsparse_order_21rocsparse_index_base_b.numbered_sgpr, 23
	.set _ZN9rocsparseL29bsrmmnt_small_blockdim_kernelILj64ELj16ELj2Eii21rocsparse_complex_numIdES2_S2_S2_EEv20rocsparse_direction_T3_S4_llNS_24const_host_device_scalarIT7_EEPKT2_PKS4_PKT4_PKT5_llS7_PT6_ll16rocsparse_order_21rocsparse_index_base_b.num_named_barrier, 0
	.set _ZN9rocsparseL29bsrmmnt_small_blockdim_kernelILj64ELj16ELj2Eii21rocsparse_complex_numIdES2_S2_S2_EEv20rocsparse_direction_T3_S4_llNS_24const_host_device_scalarIT7_EEPKT2_PKS4_PKT4_PKT5_llS7_PT6_ll16rocsparse_order_21rocsparse_index_base_b.private_seg_size, 0
	.set _ZN9rocsparseL29bsrmmnt_small_blockdim_kernelILj64ELj16ELj2Eii21rocsparse_complex_numIdES2_S2_S2_EEv20rocsparse_direction_T3_S4_llNS_24const_host_device_scalarIT7_EEPKT2_PKS4_PKT4_PKT5_llS7_PT6_ll16rocsparse_order_21rocsparse_index_base_b.uses_vcc, 1
	.set _ZN9rocsparseL29bsrmmnt_small_blockdim_kernelILj64ELj16ELj2Eii21rocsparse_complex_numIdES2_S2_S2_EEv20rocsparse_direction_T3_S4_llNS_24const_host_device_scalarIT7_EEPKT2_PKS4_PKT4_PKT5_llS7_PT6_ll16rocsparse_order_21rocsparse_index_base_b.uses_flat_scratch, 0
	.set _ZN9rocsparseL29bsrmmnt_small_blockdim_kernelILj64ELj16ELj2Eii21rocsparse_complex_numIdES2_S2_S2_EEv20rocsparse_direction_T3_S4_llNS_24const_host_device_scalarIT7_EEPKT2_PKS4_PKT4_PKT5_llS7_PT6_ll16rocsparse_order_21rocsparse_index_base_b.has_dyn_sized_stack, 0
	.set _ZN9rocsparseL29bsrmmnt_small_blockdim_kernelILj64ELj16ELj2Eii21rocsparse_complex_numIdES2_S2_S2_EEv20rocsparse_direction_T3_S4_llNS_24const_host_device_scalarIT7_EEPKT2_PKS4_PKT4_PKT5_llS7_PT6_ll16rocsparse_order_21rocsparse_index_base_b.has_recursion, 0
	.set _ZN9rocsparseL29bsrmmnt_small_blockdim_kernelILj64ELj16ELj2Eii21rocsparse_complex_numIdES2_S2_S2_EEv20rocsparse_direction_T3_S4_llNS_24const_host_device_scalarIT7_EEPKT2_PKS4_PKT4_PKT5_llS7_PT6_ll16rocsparse_order_21rocsparse_index_base_b.has_indirect_call, 0
	.section	.AMDGPU.csdata,"",@progbits
; Kernel info:
; codeLenInByte = 1560
; TotalNumSgprs: 25
; NumVgprs: 58
; ScratchSize: 0
; MemoryBound: 0
; FloatMode: 240
; IeeeMode: 1
; LDSByteSize: 3328 bytes/workgroup (compile time only)
; SGPRBlocks: 0
; VGPRBlocks: 3
; NumSGPRsForWavesPerEU: 25
; NumVGPRsForWavesPerEU: 58
; NamedBarCnt: 0
; Occupancy: 16
; WaveLimiterHint : 0
; COMPUTE_PGM_RSRC2:SCRATCH_EN: 0
; COMPUTE_PGM_RSRC2:USER_SGPR: 2
; COMPUTE_PGM_RSRC2:TRAP_HANDLER: 0
; COMPUTE_PGM_RSRC2:TGID_X_EN: 1
; COMPUTE_PGM_RSRC2:TGID_Y_EN: 0
; COMPUTE_PGM_RSRC2:TGID_Z_EN: 0
; COMPUTE_PGM_RSRC2:TIDIG_COMP_CNT: 0
	.section	.text._ZN9rocsparseL29bsrmmnt_small_blockdim_kernelILj64ELj32ELj2Eii21rocsparse_complex_numIdES2_S2_S2_EEv20rocsparse_direction_T3_S4_llNS_24const_host_device_scalarIT7_EEPKT2_PKS4_PKT4_PKT5_llS7_PT6_ll16rocsparse_order_21rocsparse_index_base_b,"axG",@progbits,_ZN9rocsparseL29bsrmmnt_small_blockdim_kernelILj64ELj32ELj2Eii21rocsparse_complex_numIdES2_S2_S2_EEv20rocsparse_direction_T3_S4_llNS_24const_host_device_scalarIT7_EEPKT2_PKS4_PKT4_PKT5_llS7_PT6_ll16rocsparse_order_21rocsparse_index_base_b,comdat
	.globl	_ZN9rocsparseL29bsrmmnt_small_blockdim_kernelILj64ELj32ELj2Eii21rocsparse_complex_numIdES2_S2_S2_EEv20rocsparse_direction_T3_S4_llNS_24const_host_device_scalarIT7_EEPKT2_PKS4_PKT4_PKT5_llS7_PT6_ll16rocsparse_order_21rocsparse_index_base_b ; -- Begin function _ZN9rocsparseL29bsrmmnt_small_blockdim_kernelILj64ELj32ELj2Eii21rocsparse_complex_numIdES2_S2_S2_EEv20rocsparse_direction_T3_S4_llNS_24const_host_device_scalarIT7_EEPKT2_PKS4_PKT4_PKT5_llS7_PT6_ll16rocsparse_order_21rocsparse_index_base_b
	.p2align	8
	.type	_ZN9rocsparseL29bsrmmnt_small_blockdim_kernelILj64ELj32ELj2Eii21rocsparse_complex_numIdES2_S2_S2_EEv20rocsparse_direction_T3_S4_llNS_24const_host_device_scalarIT7_EEPKT2_PKS4_PKT4_PKT5_llS7_PT6_ll16rocsparse_order_21rocsparse_index_base_b,@function
_ZN9rocsparseL29bsrmmnt_small_blockdim_kernelILj64ELj32ELj2Eii21rocsparse_complex_numIdES2_S2_S2_EEv20rocsparse_direction_T3_S4_llNS_24const_host_device_scalarIT7_EEPKT2_PKS4_PKT4_PKT5_llS7_PT6_ll16rocsparse_order_21rocsparse_index_base_b: ; @_ZN9rocsparseL29bsrmmnt_small_blockdim_kernelILj64ELj32ELj2Eii21rocsparse_complex_numIdES2_S2_S2_EEv20rocsparse_direction_T3_S4_llNS_24const_host_device_scalarIT7_EEPKT2_PKS4_PKT4_PKT5_llS7_PT6_ll16rocsparse_order_21rocsparse_index_base_b
; %bb.0:
	s_clause 0x1
	s_load_b96 s[16:18], s[0:1], 0x88
	s_load_b64 s[2:3], s[0:1], 0x20
	v_mov_b32_e32 v1, 0
	s_add_nc_u64 s[4:5], s[0:1], 32
	s_load_b64 s[6:7], s[0:1], 0x60
	s_wait_kmcnt 0x0
	s_bitcmp1_b32 s18, 0
	s_cselect_b32 s3, s5, s3
	s_cselect_b32 s2, s4, s2
	flat_load_b128 v[2:5], v1, s[2:3]
	s_wait_xcnt 0x0
	s_add_nc_u64 s[2:3], s[0:1], 0x60
	s_delay_alu instid0(SALU_CYCLE_1)
	s_cselect_b32 s3, s3, s7
	s_cselect_b32 s2, s2, s6
	flat_load_b128 v[6:9], v1, s[2:3]
	s_wait_loadcnt_dscnt 0x101
	v_cmp_eq_f64_e32 vcc_lo, 0, v[2:3]
	s_wait_xcnt 0x0
	v_cmp_eq_f64_e64 s2, 0, v[4:5]
	s_and_b32 s4, vcc_lo, s2
	s_mov_b32 s2, -1
	s_and_saveexec_b32 s3, s4
	s_cbranch_execz .LBB59_2
; %bb.1:
	s_wait_loadcnt_dscnt 0x0
	v_cmp_neq_f64_e32 vcc_lo, 1.0, v[6:7]
	v_cmp_neq_f64_e64 s2, 0, v[8:9]
	s_or_b32 s2, vcc_lo, s2
	s_delay_alu instid0(SALU_CYCLE_1)
	s_or_not1_b32 s2, s2, exec_lo
.LBB59_2:
	s_or_b32 exec_lo, exec_lo, s3
	s_and_saveexec_b32 s3, s2
	s_cbranch_execz .LBB59_27
; %bb.3:
	s_clause 0x1
	s_load_b32 s2, s[0:1], 0xa4
	s_load_b96 s[20:22], s[0:1], 0x0
	s_bfe_u32 s3, ttmp6, 0x4000c
	s_and_b32 s4, ttmp6, 15
	s_add_co_i32 s3, s3, 1
	s_getreg_b32 s5, hwreg(HW_REG_IB_STS2, 6, 4)
	s_mul_i32 s3, ttmp9, s3
	s_delay_alu instid0(SALU_CYCLE_1) | instskip(SKIP_4) | instid1(SALU_CYCLE_1)
	s_add_co_i32 s4, s4, s3
	s_wait_kmcnt 0x0
	s_and_b32 s2, s2, 0xffff
	s_cmp_eq_u32 s5, 0
	s_cselect_b32 s3, ttmp9, s4
	v_mad_u32 v1, s3, s2, v0
	s_delay_alu instid0(VALU_DEP_1) | instskip(NEXT) | instid1(VALU_DEP_1)
	v_lshrrev_b32_e32 v10, 6, v1
	v_cmp_gt_i32_e32 vcc_lo, s21, v10
	s_and_b32 exec_lo, exec_lo, vcc_lo
	s_cbranch_execz .LBB59_27
; %bb.4:
	s_cmp_lt_i32 s22, 1
	s_cbranch_scc1 .LBB59_27
; %bb.5:
	s_load_b256 s[4:11], s[0:1], 0x30
	v_dual_lshlrev_b32 v10, 2, v10 :: v_dual_lshrrev_b32 v12, 5, v1
	s_clause 0x1
	s_load_b128 s[12:15], s[0:1], 0x70
	s_load_b64 s[2:3], s[0:1], 0x50
	v_dual_mov_b32 v13, 0 :: v_dual_lshrrev_b32 v16, 5, v0
	s_wait_loadcnt_dscnt 0x0
	v_cmp_neq_f64_e32 vcc_lo, 0, v[6:7]
	s_wait_xcnt 0x0
	v_cmp_neq_f64_e64 s0, 0, v[8:9]
	v_bfe_u32 v1, v1, 5, 1
	v_and_b32_e32 v28, 31, v0
	s_cmp_eq_u32 s20, 0
	v_lshl_or_b32 v29, v16, 7, 0xc00
	v_mul_u32_u24_e32 v30, 0x600, v16
	v_dual_lshlrev_b32 v0, 1, v1 :: v_dual_bitop2_b32 v17, 2, v1 bitop3:0x54
	v_mul_u32_u24_e32 v16, 48, v28
	s_cselect_b32 s1, -1, 0
	v_lshl_or_b32 v31, v28, 2, v29
	s_delay_alu instid0(VALU_DEP_3)
	v_dual_cndmask_b32 v32, v1, v0, s1 :: v_dual_bitop2_b32 v18, 1, v0 bitop3:0x54
	s_wait_kmcnt 0x0
	global_load_b64 v[10:11], v10, s[4:5]
	v_add_nc_u32_e32 v36, v30, v16
	v_mul_u64_e32 v[14:15], s[14:15], v[12:13]
	v_dual_lshlrev_b32 v12, 4, v12 :: v_dual_cndmask_b32 v33, v17, v18, s1
	s_wait_xcnt 0x0
	s_mov_b32 s5, 0
	s_delay_alu instid0(VALU_DEP_1) | instskip(SKIP_2) | instid1(VALU_DEP_3)
	v_add_nc_u64_e32 v[0:1], s[12:13], v[12:13]
	s_or_b32 s4, vcc_lo, s0
	s_cmp_lg_u32 s16, 1
	v_lshl_add_u64 v[18:19], v[14:15], 4, s[12:13]
	s_cselect_b32 s12, -1, 0
	s_wait_loadcnt 0x0
	v_subrev_nc_u32_e32 v34, s17, v10
	v_subrev_nc_u32_e32 v35, s17, v11
	v_cmp_lt_i32_e64 s0, v10, v11
	s_branch .LBB59_7
.LBB59_6:                               ;   in Loop: Header=BB59_7 Depth=1
	s_wait_xcnt 0x0
	s_or_b32 exec_lo, exec_lo, s1
	s_add_co_i32 s5, s5, 32
	s_delay_alu instid0(SALU_CYCLE_1)
	s_cmp_lt_i32 s5, s22
	s_cbranch_scc0 .LBB59_27
.LBB59_7:                               ; =>This Loop Header: Depth=1
                                        ;     Child Loop BB59_10 Depth 2
                                        ;       Child Loop BB59_14 Depth 3
	v_or_b32_e32 v20, s5, v28
	v_mov_b64_e32 v[22:23], 0
	v_mov_b64_e32 v[24:25], 0
	s_delay_alu instid0(VALU_DEP_3)
	v_ashrrev_i32_e32 v21, 31, v20
	s_and_saveexec_b32 s13, s0
	s_cbranch_execz .LBB59_16
; %bb.8:                                ;   in Loop: Header=BB59_7 Depth=1
	v_mov_b64_e32 v[22:23], 0
	v_mov_b64_e32 v[24:25], 0
	v_lshl_add_u64 v[26:27], v[20:21], 4, s[10:11]
	v_mov_b32_e32 v37, v34
	s_mov_b32 s16, 0
	v_cmp_gt_i32_e32 vcc_lo, s22, v20
	s_branch .LBB59_10
.LBB59_9:                               ;   in Loop: Header=BB59_10 Depth=2
	s_or_b32 exec_lo, exec_lo, s1
	v_add_nc_u32_e32 v37, 32, v37
	s_delay_alu instid0(VALU_DEP_1) | instskip(SKIP_1) | instid1(SALU_CYCLE_1)
	v_cmp_ge_i32_e64 s1, v37, v35
	s_or_b32 s16, s1, s16
	s_and_not1_b32 exec_lo, exec_lo, s16
	s_cbranch_execz .LBB59_15
.LBB59_10:                              ;   Parent Loop BB59_7 Depth=1
                                        ; =>  This Loop Header: Depth=2
                                        ;       Child Loop BB59_14 Depth 3
	v_mov_b64_e32 v[14:15], 0
	v_mov_b64_e32 v[16:17], 0
	;; [unrolled: 1-line block ×4, first 2 shown]
	v_dual_mov_b32 v38, 0 :: v_dual_add_nc_u32 v39, v37, v28
	s_mov_b32 s18, exec_lo
	s_delay_alu instid0(VALU_DEP_1)
	v_cmpx_lt_i32_e64 v39, v35
	s_cbranch_execz .LBB59_12
; %bb.11:                               ;   in Loop: Header=BB59_10 Depth=2
	global_load_b32 v38, v39, s[6:7] scale_offset
	s_wait_loadcnt 0x0
	v_subrev_nc_u32_e32 v38, s17, v38
	s_delay_alu instid0(VALU_DEP_1) | instskip(SKIP_1) | instid1(VALU_DEP_1)
	v_dual_lshlrev_b32 v10, 2, v39 :: v_dual_lshlrev_b32 v38, 1, v38
	s_wait_xcnt 0x0
	v_or_b32_e32 v39, v10, v32
	v_or_b32_e32 v40, v10, v33
	s_clause 0x1
	global_load_b128 v[14:17], v39, s[8:9] scale_offset
	global_load_b128 v[10:13], v40, s[8:9] scale_offset
.LBB59_12:                              ;   in Loop: Header=BB59_10 Depth=2
	s_wait_xcnt 0x0
	s_or_b32 exec_lo, exec_lo, s18
	ds_store_b32 v31, v38
	s_wait_loadcnt 0x1
	ds_store_b128 v36, v[14:17]
	s_wait_loadcnt 0x0
	ds_store_b128 v36, v[10:13] offset:16
	s_wait_dscnt 0x0
	s_barrier_signal -1
	s_barrier_wait -1
	s_and_saveexec_b32 s1, vcc_lo
	s_cbranch_execz .LBB59_9
; %bb.13:                               ;   in Loop: Header=BB59_10 Depth=2
	v_mov_b32_e32 v10, v30
	s_mov_b32 s18, 0
.LBB59_14:                              ;   Parent Loop BB59_7 Depth=1
                                        ;     Parent Loop BB59_10 Depth=2
                                        ; =>    This Inner Loop Header: Depth=3
	s_delay_alu instid0(SALU_CYCLE_1) | instskip(SKIP_1) | instid1(SALU_CYCLE_1)
	v_add_nc_u32_e32 v11, s18, v29
	s_add_co_i32 s18, s18, 8
	s_cmp_lg_u32 s18, 0x80
	ds_load_b64 v[16:17], v11
	s_wait_dscnt 0x0
	v_dual_mov_b32 v12, v16 :: v_dual_ashrrev_i32 v13, 31, v16
	v_dual_add_nc_u32 v38, 1, v16 :: v_dual_mov_b32 v42, v17
	v_dual_add_nc_u32 v16, 1, v17 :: v_dual_ashrrev_i32 v43, 31, v17
	s_delay_alu instid0(VALU_DEP_3) | instskip(NEXT) | instid1(VALU_DEP_3)
	v_mul_u64_e32 v[12:13], s[2:3], v[12:13]
	v_ashrrev_i32_e32 v39, 31, v38
	s_delay_alu instid0(VALU_DEP_3) | instskip(NEXT) | instid1(VALU_DEP_2)
	v_mul_u64_e32 v[42:43], s[2:3], v[42:43]
	v_mul_u64_e32 v[38:39], s[2:3], v[38:39]
	s_delay_alu instid0(VALU_DEP_4) | instskip(NEXT) | instid1(VALU_DEP_3)
	v_lshl_add_u64 v[12:13], v[12:13], 4, v[26:27]
	v_lshl_add_u64 v[42:43], v[42:43], 4, v[26:27]
	global_load_b128 v[12:15], v[12:13], off
	v_lshl_add_u64 v[38:39], v[38:39], 4, v[26:27]
	v_ashrrev_i32_e32 v17, 31, v16
	s_clause 0x1
	global_load_b128 v[42:45], v[42:43], off
	global_load_b128 v[38:41], v[38:39], off
	v_mul_u64_e32 v[16:17], s[2:3], v[16:17]
	s_delay_alu instid0(VALU_DEP_1)
	v_lshl_add_u64 v[16:17], v[16:17], 4, v[26:27]
	global_load_b128 v[46:49], v[16:17], off
	ds_load_b128 v[50:53], v10
	ds_load_b128 v[54:57], v10 offset:16
	s_wait_loadcnt_dscnt 0x301
	v_fmac_f64_e32 v[24:25], v[50:51], v[12:13]
	v_fmac_f64_e32 v[22:23], v[52:53], v[12:13]
	s_wait_xcnt 0x3
	s_delay_alu instid0(VALU_DEP_2) | instskip(NEXT) | instid1(VALU_DEP_2)
	v_fma_f64 v[12:13], -v[52:53], v[14:15], v[24:25]
	v_fmac_f64_e32 v[22:23], v[50:51], v[14:15]
	s_wait_loadcnt_dscnt 0x100
	s_delay_alu instid0(VALU_DEP_2) | instskip(NEXT) | instid1(VALU_DEP_2)
	v_fmac_f64_e32 v[12:13], v[54:55], v[38:39]
	v_fmac_f64_e32 v[22:23], v[56:57], v[38:39]
	s_wait_xcnt 0x0
	s_delay_alu instid0(VALU_DEP_2) | instskip(NEXT) | instid1(VALU_DEP_2)
	v_fma_f64 v[16:17], -v[56:57], v[40:41], v[12:13]
	v_fmac_f64_e32 v[22:23], v[54:55], v[40:41]
	ds_load_b128 v[12:15], v10 offset:48
	ds_load_b128 v[38:41], v10 offset:64
	v_add_nc_u32_e32 v10, 0x60, v10
	s_wait_dscnt 0x1
	v_fmac_f64_e32 v[16:17], v[12:13], v[42:43]
	v_fmac_f64_e32 v[22:23], v[14:15], v[42:43]
	s_delay_alu instid0(VALU_DEP_2) | instskip(NEXT) | instid1(VALU_DEP_2)
	v_fma_f64 v[14:15], -v[14:15], v[44:45], v[16:17]
	v_fmac_f64_e32 v[22:23], v[12:13], v[44:45]
	s_wait_loadcnt_dscnt 0x0
	s_delay_alu instid0(VALU_DEP_2) | instskip(NEXT) | instid1(VALU_DEP_2)
	v_fmac_f64_e32 v[14:15], v[38:39], v[46:47]
	v_fmac_f64_e32 v[22:23], v[40:41], v[46:47]
	s_delay_alu instid0(VALU_DEP_2) | instskip(NEXT) | instid1(VALU_DEP_2)
	v_fma_f64 v[24:25], -v[40:41], v[48:49], v[14:15]
	v_fmac_f64_e32 v[22:23], v[38:39], v[48:49]
	s_cbranch_scc1 .LBB59_14
	s_branch .LBB59_9
.LBB59_15:                              ;   in Loop: Header=BB59_7 Depth=1
	s_or_b32 exec_lo, exec_lo, s16
.LBB59_16:                              ;   in Loop: Header=BB59_7 Depth=1
	s_delay_alu instid0(SALU_CYCLE_1) | instskip(NEXT) | instid1(SALU_CYCLE_1)
	s_or_b32 exec_lo, exec_lo, s13
	s_mov_b32 s1, exec_lo
	v_cmpx_gt_i32_e64 s22, v20
	s_cbranch_execz .LBB59_6
; %bb.17:                               ;   in Loop: Header=BB59_7 Depth=1
	s_and_saveexec_b32 s13, s4
	s_delay_alu instid0(SALU_CYCLE_1)
	s_xor_b32 s13, exec_lo, s13
	s_cbranch_execz .LBB59_22
; %bb.18:                               ;   in Loop: Header=BB59_7 Depth=1
	s_and_b32 vcc_lo, exec_lo, s12
	s_mov_b32 s16, -1
	s_cbranch_vccz .LBB59_20
; %bb.19:                               ;   in Loop: Header=BB59_7 Depth=1
	v_lshl_add_u64 v[26:27], v[20:21], 4, v[18:19]
	v_mul_f64_e64 v[14:15], v[22:23], -v[4:5]
	v_mul_f64_e32 v[16:17], v[2:3], v[22:23]
	s_mov_b32 s16, 0
	global_load_b128 v[10:13], v[26:27], off
	v_fmac_f64_e32 v[14:15], v[2:3], v[24:25]
	v_fmac_f64_e32 v[16:17], v[4:5], v[24:25]
	s_wait_loadcnt 0x0
	s_delay_alu instid0(VALU_DEP_2) | instskip(NEXT) | instid1(VALU_DEP_2)
	v_fmac_f64_e32 v[14:15], v[6:7], v[10:11]
	v_fmac_f64_e32 v[16:17], v[8:9], v[10:11]
	s_delay_alu instid0(VALU_DEP_2) | instskip(NEXT) | instid1(VALU_DEP_2)
	v_fma_f64 v[14:15], -v[8:9], v[12:13], v[14:15]
	v_fmac_f64_e32 v[16:17], v[6:7], v[12:13]
	global_store_b128 v[26:27], v[14:17], off
.LBB59_20:                              ;   in Loop: Header=BB59_7 Depth=1
	s_and_not1_b32 vcc_lo, exec_lo, s16
	s_cbranch_vccnz .LBB59_22
; %bb.21:                               ;   in Loop: Header=BB59_7 Depth=1
	v_mul_u64_e32 v[10:11], s[14:15], v[20:21]
	s_wait_xcnt 0x0
	v_mul_f64_e64 v[14:15], v[22:23], -v[4:5]
	v_mul_f64_e32 v[16:17], v[2:3], v[22:23]
                                        ; implicit-def: $vgpr22_vgpr23
	s_delay_alu instid0(VALU_DEP_3) | instskip(NEXT) | instid1(VALU_DEP_3)
	v_lshl_add_u64 v[20:21], v[10:11], 4, v[0:1]
	v_fmac_f64_e32 v[14:15], v[2:3], v[24:25]
	s_delay_alu instid0(VALU_DEP_3) | instskip(SKIP_4) | instid1(VALU_DEP_2)
	v_fmac_f64_e32 v[16:17], v[4:5], v[24:25]
                                        ; implicit-def: $vgpr24_vgpr25
	global_load_b128 v[10:13], v[20:21], off
	s_wait_loadcnt 0x0
	v_fmac_f64_e32 v[14:15], v[6:7], v[10:11]
	v_fmac_f64_e32 v[16:17], v[8:9], v[10:11]
	v_fma_f64 v[14:15], -v[8:9], v[12:13], v[14:15]
	s_delay_alu instid0(VALU_DEP_2)
	v_fmac_f64_e32 v[16:17], v[6:7], v[12:13]
	global_store_b128 v[20:21], v[14:17], off
                                        ; implicit-def: $vgpr20
.LBB59_22:                              ;   in Loop: Header=BB59_7 Depth=1
	s_wait_xcnt 0x0
	s_and_not1_saveexec_b32 s13, s13
	s_cbranch_execz .LBB59_6
; %bb.23:                               ;   in Loop: Header=BB59_7 Depth=1
	v_mul_f64_e64 v[10:11], v[22:23], -v[4:5]
	v_mul_f64_e32 v[12:13], v[2:3], v[22:23]
	s_and_b32 vcc_lo, exec_lo, s12
	s_mov_b32 s13, -1
	s_delay_alu instid0(VALU_DEP_2) | instskip(NEXT) | instid1(VALU_DEP_2)
	v_fmac_f64_e32 v[10:11], v[2:3], v[24:25]
	v_fmac_f64_e32 v[12:13], v[4:5], v[24:25]
	s_cbranch_vccz .LBB59_25
; %bb.24:                               ;   in Loop: Header=BB59_7 Depth=1
	v_lshl_add_u64 v[14:15], v[20:21], 4, v[18:19]
	s_mov_b32 s13, 0
	global_store_b128 v[14:15], v[10:13], off
.LBB59_25:                              ;   in Loop: Header=BB59_7 Depth=1
	s_and_not1_b32 vcc_lo, exec_lo, s13
	s_cbranch_vccnz .LBB59_6
; %bb.26:                               ;   in Loop: Header=BB59_7 Depth=1
	s_wait_xcnt 0x0
	v_mul_u64_e32 v[14:15], s[14:15], v[20:21]
	s_delay_alu instid0(VALU_DEP_1)
	v_lshl_add_u64 v[14:15], v[14:15], 4, v[0:1]
	global_store_b128 v[14:15], v[10:13], off
	s_branch .LBB59_6
.LBB59_27:
	s_endpgm
	.section	.rodata,"a",@progbits
	.p2align	6, 0x0
	.amdhsa_kernel _ZN9rocsparseL29bsrmmnt_small_blockdim_kernelILj64ELj32ELj2Eii21rocsparse_complex_numIdES2_S2_S2_EEv20rocsparse_direction_T3_S4_llNS_24const_host_device_scalarIT7_EEPKT2_PKS4_PKT4_PKT5_llS7_PT6_ll16rocsparse_order_21rocsparse_index_base_b
		.amdhsa_group_segment_fixed_size 3328
		.amdhsa_private_segment_fixed_size 0
		.amdhsa_kernarg_size 408
		.amdhsa_user_sgpr_count 2
		.amdhsa_user_sgpr_dispatch_ptr 0
		.amdhsa_user_sgpr_queue_ptr 0
		.amdhsa_user_sgpr_kernarg_segment_ptr 1
		.amdhsa_user_sgpr_dispatch_id 0
		.amdhsa_user_sgpr_kernarg_preload_length 0
		.amdhsa_user_sgpr_kernarg_preload_offset 0
		.amdhsa_user_sgpr_private_segment_size 0
		.amdhsa_wavefront_size32 1
		.amdhsa_uses_dynamic_stack 0
		.amdhsa_enable_private_segment 0
		.amdhsa_system_sgpr_workgroup_id_x 1
		.amdhsa_system_sgpr_workgroup_id_y 0
		.amdhsa_system_sgpr_workgroup_id_z 0
		.amdhsa_system_sgpr_workgroup_info 0
		.amdhsa_system_vgpr_workitem_id 0
		.amdhsa_next_free_vgpr 58
		.amdhsa_next_free_sgpr 23
		.amdhsa_named_barrier_count 0
		.amdhsa_reserve_vcc 1
		.amdhsa_float_round_mode_32 0
		.amdhsa_float_round_mode_16_64 0
		.amdhsa_float_denorm_mode_32 3
		.amdhsa_float_denorm_mode_16_64 3
		.amdhsa_fp16_overflow 0
		.amdhsa_memory_ordered 1
		.amdhsa_forward_progress 1
		.amdhsa_inst_pref_size 13
		.amdhsa_round_robin_scheduling 0
		.amdhsa_exception_fp_ieee_invalid_op 0
		.amdhsa_exception_fp_denorm_src 0
		.amdhsa_exception_fp_ieee_div_zero 0
		.amdhsa_exception_fp_ieee_overflow 0
		.amdhsa_exception_fp_ieee_underflow 0
		.amdhsa_exception_fp_ieee_inexact 0
		.amdhsa_exception_int_div_zero 0
	.end_amdhsa_kernel
	.section	.text._ZN9rocsparseL29bsrmmnt_small_blockdim_kernelILj64ELj32ELj2Eii21rocsparse_complex_numIdES2_S2_S2_EEv20rocsparse_direction_T3_S4_llNS_24const_host_device_scalarIT7_EEPKT2_PKS4_PKT4_PKT5_llS7_PT6_ll16rocsparse_order_21rocsparse_index_base_b,"axG",@progbits,_ZN9rocsparseL29bsrmmnt_small_blockdim_kernelILj64ELj32ELj2Eii21rocsparse_complex_numIdES2_S2_S2_EEv20rocsparse_direction_T3_S4_llNS_24const_host_device_scalarIT7_EEPKT2_PKS4_PKT4_PKT5_llS7_PT6_ll16rocsparse_order_21rocsparse_index_base_b,comdat
.Lfunc_end59:
	.size	_ZN9rocsparseL29bsrmmnt_small_blockdim_kernelILj64ELj32ELj2Eii21rocsparse_complex_numIdES2_S2_S2_EEv20rocsparse_direction_T3_S4_llNS_24const_host_device_scalarIT7_EEPKT2_PKS4_PKT4_PKT5_llS7_PT6_ll16rocsparse_order_21rocsparse_index_base_b, .Lfunc_end59-_ZN9rocsparseL29bsrmmnt_small_blockdim_kernelILj64ELj32ELj2Eii21rocsparse_complex_numIdES2_S2_S2_EEv20rocsparse_direction_T3_S4_llNS_24const_host_device_scalarIT7_EEPKT2_PKS4_PKT4_PKT5_llS7_PT6_ll16rocsparse_order_21rocsparse_index_base_b
                                        ; -- End function
	.set _ZN9rocsparseL29bsrmmnt_small_blockdim_kernelILj64ELj32ELj2Eii21rocsparse_complex_numIdES2_S2_S2_EEv20rocsparse_direction_T3_S4_llNS_24const_host_device_scalarIT7_EEPKT2_PKS4_PKT4_PKT5_llS7_PT6_ll16rocsparse_order_21rocsparse_index_base_b.num_vgpr, 58
	.set _ZN9rocsparseL29bsrmmnt_small_blockdim_kernelILj64ELj32ELj2Eii21rocsparse_complex_numIdES2_S2_S2_EEv20rocsparse_direction_T3_S4_llNS_24const_host_device_scalarIT7_EEPKT2_PKS4_PKT4_PKT5_llS7_PT6_ll16rocsparse_order_21rocsparse_index_base_b.num_agpr, 0
	.set _ZN9rocsparseL29bsrmmnt_small_blockdim_kernelILj64ELj32ELj2Eii21rocsparse_complex_numIdES2_S2_S2_EEv20rocsparse_direction_T3_S4_llNS_24const_host_device_scalarIT7_EEPKT2_PKS4_PKT4_PKT5_llS7_PT6_ll16rocsparse_order_21rocsparse_index_base_b.numbered_sgpr, 23
	.set _ZN9rocsparseL29bsrmmnt_small_blockdim_kernelILj64ELj32ELj2Eii21rocsparse_complex_numIdES2_S2_S2_EEv20rocsparse_direction_T3_S4_llNS_24const_host_device_scalarIT7_EEPKT2_PKS4_PKT4_PKT5_llS7_PT6_ll16rocsparse_order_21rocsparse_index_base_b.num_named_barrier, 0
	.set _ZN9rocsparseL29bsrmmnt_small_blockdim_kernelILj64ELj32ELj2Eii21rocsparse_complex_numIdES2_S2_S2_EEv20rocsparse_direction_T3_S4_llNS_24const_host_device_scalarIT7_EEPKT2_PKS4_PKT4_PKT5_llS7_PT6_ll16rocsparse_order_21rocsparse_index_base_b.private_seg_size, 0
	.set _ZN9rocsparseL29bsrmmnt_small_blockdim_kernelILj64ELj32ELj2Eii21rocsparse_complex_numIdES2_S2_S2_EEv20rocsparse_direction_T3_S4_llNS_24const_host_device_scalarIT7_EEPKT2_PKS4_PKT4_PKT5_llS7_PT6_ll16rocsparse_order_21rocsparse_index_base_b.uses_vcc, 1
	.set _ZN9rocsparseL29bsrmmnt_small_blockdim_kernelILj64ELj32ELj2Eii21rocsparse_complex_numIdES2_S2_S2_EEv20rocsparse_direction_T3_S4_llNS_24const_host_device_scalarIT7_EEPKT2_PKS4_PKT4_PKT5_llS7_PT6_ll16rocsparse_order_21rocsparse_index_base_b.uses_flat_scratch, 0
	.set _ZN9rocsparseL29bsrmmnt_small_blockdim_kernelILj64ELj32ELj2Eii21rocsparse_complex_numIdES2_S2_S2_EEv20rocsparse_direction_T3_S4_llNS_24const_host_device_scalarIT7_EEPKT2_PKS4_PKT4_PKT5_llS7_PT6_ll16rocsparse_order_21rocsparse_index_base_b.has_dyn_sized_stack, 0
	.set _ZN9rocsparseL29bsrmmnt_small_blockdim_kernelILj64ELj32ELj2Eii21rocsparse_complex_numIdES2_S2_S2_EEv20rocsparse_direction_T3_S4_llNS_24const_host_device_scalarIT7_EEPKT2_PKS4_PKT4_PKT5_llS7_PT6_ll16rocsparse_order_21rocsparse_index_base_b.has_recursion, 0
	.set _ZN9rocsparseL29bsrmmnt_small_blockdim_kernelILj64ELj32ELj2Eii21rocsparse_complex_numIdES2_S2_S2_EEv20rocsparse_direction_T3_S4_llNS_24const_host_device_scalarIT7_EEPKT2_PKS4_PKT4_PKT5_llS7_PT6_ll16rocsparse_order_21rocsparse_index_base_b.has_indirect_call, 0
	.section	.AMDGPU.csdata,"",@progbits
; Kernel info:
; codeLenInByte = 1564
; TotalNumSgprs: 25
; NumVgprs: 58
; ScratchSize: 0
; MemoryBound: 0
; FloatMode: 240
; IeeeMode: 1
; LDSByteSize: 3328 bytes/workgroup (compile time only)
; SGPRBlocks: 0
; VGPRBlocks: 3
; NumSGPRsForWavesPerEU: 25
; NumVGPRsForWavesPerEU: 58
; NamedBarCnt: 0
; Occupancy: 16
; WaveLimiterHint : 0
; COMPUTE_PGM_RSRC2:SCRATCH_EN: 0
; COMPUTE_PGM_RSRC2:USER_SGPR: 2
; COMPUTE_PGM_RSRC2:TRAP_HANDLER: 0
; COMPUTE_PGM_RSRC2:TGID_X_EN: 1
; COMPUTE_PGM_RSRC2:TGID_Y_EN: 0
; COMPUTE_PGM_RSRC2:TGID_Z_EN: 0
; COMPUTE_PGM_RSRC2:TIDIG_COMP_CNT: 0
	.section	.text._ZN9rocsparseL29bsrmmnt_small_blockdim_kernelILj64ELj64ELj2Eii21rocsparse_complex_numIdES2_S2_S2_EEv20rocsparse_direction_T3_S4_llNS_24const_host_device_scalarIT7_EEPKT2_PKS4_PKT4_PKT5_llS7_PT6_ll16rocsparse_order_21rocsparse_index_base_b,"axG",@progbits,_ZN9rocsparseL29bsrmmnt_small_blockdim_kernelILj64ELj64ELj2Eii21rocsparse_complex_numIdES2_S2_S2_EEv20rocsparse_direction_T3_S4_llNS_24const_host_device_scalarIT7_EEPKT2_PKS4_PKT4_PKT5_llS7_PT6_ll16rocsparse_order_21rocsparse_index_base_b,comdat
	.globl	_ZN9rocsparseL29bsrmmnt_small_blockdim_kernelILj64ELj64ELj2Eii21rocsparse_complex_numIdES2_S2_S2_EEv20rocsparse_direction_T3_S4_llNS_24const_host_device_scalarIT7_EEPKT2_PKS4_PKT4_PKT5_llS7_PT6_ll16rocsparse_order_21rocsparse_index_base_b ; -- Begin function _ZN9rocsparseL29bsrmmnt_small_blockdim_kernelILj64ELj64ELj2Eii21rocsparse_complex_numIdES2_S2_S2_EEv20rocsparse_direction_T3_S4_llNS_24const_host_device_scalarIT7_EEPKT2_PKS4_PKT4_PKT5_llS7_PT6_ll16rocsparse_order_21rocsparse_index_base_b
	.p2align	8
	.type	_ZN9rocsparseL29bsrmmnt_small_blockdim_kernelILj64ELj64ELj2Eii21rocsparse_complex_numIdES2_S2_S2_EEv20rocsparse_direction_T3_S4_llNS_24const_host_device_scalarIT7_EEPKT2_PKS4_PKT4_PKT5_llS7_PT6_ll16rocsparse_order_21rocsparse_index_base_b,@function
_ZN9rocsparseL29bsrmmnt_small_blockdim_kernelILj64ELj64ELj2Eii21rocsparse_complex_numIdES2_S2_S2_EEv20rocsparse_direction_T3_S4_llNS_24const_host_device_scalarIT7_EEPKT2_PKS4_PKT4_PKT5_llS7_PT6_ll16rocsparse_order_21rocsparse_index_base_b: ; @_ZN9rocsparseL29bsrmmnt_small_blockdim_kernelILj64ELj64ELj2Eii21rocsparse_complex_numIdES2_S2_S2_EEv20rocsparse_direction_T3_S4_llNS_24const_host_device_scalarIT7_EEPKT2_PKS4_PKT4_PKT5_llS7_PT6_ll16rocsparse_order_21rocsparse_index_base_b
; %bb.0:
	s_clause 0x1
	s_load_b96 s[16:18], s[0:1], 0x88
	s_load_b64 s[2:3], s[0:1], 0x20
	v_mov_b32_e32 v1, 0
	s_add_nc_u64 s[4:5], s[0:1], 32
	s_load_b64 s[6:7], s[0:1], 0x60
	s_wait_kmcnt 0x0
	s_bitcmp1_b32 s18, 0
	s_cselect_b32 s3, s5, s3
	s_cselect_b32 s2, s4, s2
	flat_load_b128 v[2:5], v1, s[2:3]
	s_wait_xcnt 0x0
	s_add_nc_u64 s[2:3], s[0:1], 0x60
	s_delay_alu instid0(SALU_CYCLE_1)
	s_cselect_b32 s3, s3, s7
	s_cselect_b32 s2, s2, s6
	flat_load_b128 v[6:9], v1, s[2:3]
	s_wait_loadcnt_dscnt 0x101
	v_cmp_eq_f64_e32 vcc_lo, 0, v[2:3]
	s_wait_xcnt 0x0
	v_cmp_eq_f64_e64 s2, 0, v[4:5]
	s_and_b32 s4, vcc_lo, s2
	s_mov_b32 s2, -1
	s_and_saveexec_b32 s3, s4
	s_cbranch_execz .LBB60_2
; %bb.1:
	s_wait_loadcnt_dscnt 0x0
	v_cmp_neq_f64_e32 vcc_lo, 1.0, v[6:7]
	v_cmp_neq_f64_e64 s2, 0, v[8:9]
	s_or_b32 s2, vcc_lo, s2
	s_delay_alu instid0(SALU_CYCLE_1)
	s_or_not1_b32 s2, s2, exec_lo
.LBB60_2:
	s_or_b32 exec_lo, exec_lo, s3
	s_and_saveexec_b32 s3, s2
	s_cbranch_execz .LBB60_27
; %bb.3:
	s_clause 0x1
	s_load_b32 s2, s[0:1], 0xa4
	s_load_b96 s[20:22], s[0:1], 0x0
	s_bfe_u32 s3, ttmp6, 0x4000c
	s_and_b32 s4, ttmp6, 15
	s_add_co_i32 s3, s3, 1
	s_getreg_b32 s5, hwreg(HW_REG_IB_STS2, 6, 4)
	s_mul_i32 s3, ttmp9, s3
	s_delay_alu instid0(SALU_CYCLE_1) | instskip(SKIP_4) | instid1(SALU_CYCLE_1)
	s_add_co_i32 s4, s4, s3
	s_wait_kmcnt 0x0
	s_and_b32 s2, s2, 0xffff
	s_cmp_eq_u32 s5, 0
	s_cselect_b32 s3, ttmp9, s4
	v_mad_u32 v1, s3, s2, v0
	s_delay_alu instid0(VALU_DEP_1) | instskip(NEXT) | instid1(VALU_DEP_1)
	v_lshrrev_b32_e32 v10, 7, v1
	v_cmp_gt_i32_e32 vcc_lo, s21, v10
	s_and_b32 exec_lo, exec_lo, vcc_lo
	s_cbranch_execz .LBB60_27
; %bb.4:
	s_cmp_lt_i32 s22, 1
	s_cbranch_scc1 .LBB60_27
; %bb.5:
	s_load_b256 s[4:11], s[0:1], 0x30
	v_dual_lshlrev_b32 v10, 2, v10 :: v_dual_lshrrev_b32 v12, 6, v1
	s_clause 0x1
	s_load_b128 s[12:15], s[0:1], 0x70
	s_load_b64 s[2:3], s[0:1], 0x50
	v_bfe_u32 v16, v1, 6, 1
	v_mov_b32_e32 v13, 0
	s_wait_loadcnt_dscnt 0x0
	v_cmp_neq_f64_e32 vcc_lo, 0, v[6:7]
	s_wait_xcnt 0x0
	v_cmp_neq_f64_e64 s0, 0, v[8:9]
	s_cmp_eq_u32 s20, 0
	v_lshlrev_b32_e32 v17, 1, v16
	s_cselect_b32 s1, -1, 0
	v_or_b32_e32 v22, 2, v16
	v_lshl_or_b32 v1, v0, 2, 0xc00
	v_mul_u32_u24_e32 v30, 48, v0
	v_dual_cndmask_b32 v31, v16, v17, s1 :: v_dual_bitop2_b32 v23, 1, v17 bitop3:0x54
	s_wait_kmcnt 0x0
	global_load_b64 v[10:11], v10, s[4:5]
	s_wait_xcnt 0x0
	s_mov_b32 s5, 0
	v_cndmask_b32_e64 v34, v22, v23, s1
	v_mul_u64_e32 v[14:15], s[14:15], v[12:13]
	v_lshlrev_b32_e32 v12, 4, v12
	s_delay_alu instid0(VALU_DEP_1) | instskip(SKIP_2) | instid1(VALU_DEP_3)
	v_add_nc_u64_e32 v[18:19], s[12:13], v[12:13]
	s_or_b32 s4, vcc_lo, s0
	s_cmp_lg_u32 s16, 1
	v_lshl_add_u64 v[20:21], v[14:15], 4, s[12:13]
	s_cselect_b32 s12, -1, 0
	s_wait_loadcnt 0x0
	v_subrev_nc_u32_e32 v32, s17, v10
	v_subrev_nc_u32_e32 v33, s17, v11
	v_cmp_lt_i32_e64 s0, v10, v11
	s_branch .LBB60_7
.LBB60_6:                               ;   in Loop: Header=BB60_7 Depth=1
	s_wait_xcnt 0x0
	s_or_b32 exec_lo, exec_lo, s1
	s_add_co_i32 s5, s5, 64
	s_delay_alu instid0(SALU_CYCLE_1)
	s_cmp_lt_i32 s5, s22
	s_cbranch_scc0 .LBB60_27
.LBB60_7:                               ; =>This Loop Header: Depth=1
                                        ;     Child Loop BB60_10 Depth 2
                                        ;       Child Loop BB60_14 Depth 3
	v_or_b32_e32 v22, s5, v0
	v_mov_b64_e32 v[24:25], 0
	v_mov_b64_e32 v[26:27], 0
	s_delay_alu instid0(VALU_DEP_3)
	v_ashrrev_i32_e32 v23, 31, v22
	s_and_saveexec_b32 s13, s0
	s_cbranch_execz .LBB60_16
; %bb.8:                                ;   in Loop: Header=BB60_7 Depth=1
	v_mov_b64_e32 v[24:25], 0
	v_mov_b64_e32 v[26:27], 0
	v_lshl_add_u64 v[28:29], v[22:23], 4, s[10:11]
	v_mov_b32_e32 v35, v32
	s_mov_b32 s16, 0
	v_cmp_gt_i32_e32 vcc_lo, s22, v22
	s_branch .LBB60_10
.LBB60_9:                               ;   in Loop: Header=BB60_10 Depth=2
	s_or_b32 exec_lo, exec_lo, s1
	v_add_nc_u32_e32 v35, 64, v35
	s_delay_alu instid0(VALU_DEP_1) | instskip(SKIP_1) | instid1(SALU_CYCLE_1)
	v_cmp_ge_i32_e64 s1, v35, v33
	s_or_b32 s16, s1, s16
	s_and_not1_b32 exec_lo, exec_lo, s16
	s_cbranch_execz .LBB60_15
.LBB60_10:                              ;   Parent Loop BB60_7 Depth=1
                                        ; =>  This Loop Header: Depth=2
                                        ;       Child Loop BB60_14 Depth 3
	v_mov_b64_e32 v[14:15], 0
	v_mov_b64_e32 v[16:17], 0
	;; [unrolled: 1-line block ×4, first 2 shown]
	v_dual_mov_b32 v36, 0 :: v_dual_add_nc_u32 v37, v35, v0
	s_mov_b32 s18, exec_lo
	s_delay_alu instid0(VALU_DEP_1)
	v_cmpx_lt_i32_e64 v37, v33
	s_cbranch_execz .LBB60_12
; %bb.11:                               ;   in Loop: Header=BB60_10 Depth=2
	global_load_b32 v36, v37, s[6:7] scale_offset
	s_wait_loadcnt 0x0
	v_subrev_nc_u32_e32 v36, s17, v36
	s_delay_alu instid0(VALU_DEP_1) | instskip(SKIP_1) | instid1(VALU_DEP_1)
	v_dual_lshlrev_b32 v10, 2, v37 :: v_dual_lshlrev_b32 v36, 1, v36
	s_wait_xcnt 0x0
	v_or_b32_e32 v37, v10, v31
	v_or_b32_e32 v38, v10, v34
	s_clause 0x1
	global_load_b128 v[14:17], v37, s[8:9] scale_offset
	global_load_b128 v[10:13], v38, s[8:9] scale_offset
.LBB60_12:                              ;   in Loop: Header=BB60_10 Depth=2
	s_wait_xcnt 0x0
	s_or_b32 exec_lo, exec_lo, s18
	ds_store_b32 v1, v36
	s_wait_loadcnt 0x1
	ds_store_b128 v30, v[14:17]
	s_wait_loadcnt 0x0
	ds_store_b128 v30, v[10:13] offset:16
	s_wait_dscnt 0x0
	s_barrier_signal -1
	s_barrier_wait -1
	s_and_saveexec_b32 s1, vcc_lo
	s_cbranch_execz .LBB60_9
; %bb.13:                               ;   in Loop: Header=BB60_10 Depth=2
	v_mov_b32_e32 v10, 0
	s_mov_b32 s18, 0
.LBB60_14:                              ;   Parent Loop BB60_7 Depth=1
                                        ;     Parent Loop BB60_10 Depth=2
                                        ; =>    This Inner Loop Header: Depth=3
	s_delay_alu instid0(SALU_CYCLE_1) | instskip(SKIP_1) | instid1(SALU_CYCLE_1)
	v_add_nc_u32_e64 v11, 0xc00, s18
	s_add_co_i32 s18, s18, 8
	s_cmp_lg_u32 s18, 0x100
	ds_load_b64 v[16:17], v11
	s_wait_dscnt 0x0
	v_dual_mov_b32 v12, v16 :: v_dual_ashrrev_i32 v13, 31, v16
	v_dual_add_nc_u32 v36, 1, v16 :: v_dual_ashrrev_i32 v41, 31, v17
	v_mov_b32_e32 v40, v17
	s_delay_alu instid0(VALU_DEP_3) | instskip(NEXT) | instid1(VALU_DEP_3)
	v_mul_u64_e32 v[12:13], s[2:3], v[12:13]
	v_ashrrev_i32_e32 v37, 31, v36
	s_delay_alu instid0(VALU_DEP_3) | instskip(NEXT) | instid1(VALU_DEP_2)
	v_mul_u64_e32 v[40:41], s[2:3], v[40:41]
	v_mul_u64_e32 v[36:37], s[2:3], v[36:37]
	s_delay_alu instid0(VALU_DEP_4) | instskip(NEXT) | instid1(VALU_DEP_3)
	v_lshl_add_u64 v[12:13], v[12:13], 4, v[28:29]
	v_lshl_add_u64 v[40:41], v[40:41], 4, v[28:29]
	global_load_b128 v[12:15], v[12:13], off
	v_lshl_add_u64 v[36:37], v[36:37], 4, v[28:29]
	v_add_nc_u32_e32 v16, 1, v17
	s_clause 0x1
	global_load_b128 v[40:43], v[40:41], off
	global_load_b128 v[36:39], v[36:37], off
	v_ashrrev_i32_e32 v17, 31, v16
	s_delay_alu instid0(VALU_DEP_1) | instskip(NEXT) | instid1(VALU_DEP_1)
	v_mul_u64_e32 v[16:17], s[2:3], v[16:17]
	v_lshl_add_u64 v[16:17], v[16:17], 4, v[28:29]
	global_load_b128 v[44:47], v[16:17], off
	ds_load_b128 v[48:51], v10
	ds_load_b128 v[52:55], v10 offset:16
	s_wait_loadcnt_dscnt 0x301
	v_fmac_f64_e32 v[26:27], v[48:49], v[12:13]
	v_fmac_f64_e32 v[24:25], v[50:51], v[12:13]
	s_wait_xcnt 0x3
	s_delay_alu instid0(VALU_DEP_2) | instskip(NEXT) | instid1(VALU_DEP_2)
	v_fma_f64 v[12:13], -v[50:51], v[14:15], v[26:27]
	v_fmac_f64_e32 v[24:25], v[48:49], v[14:15]
	s_wait_loadcnt_dscnt 0x100
	s_delay_alu instid0(VALU_DEP_2) | instskip(NEXT) | instid1(VALU_DEP_2)
	v_fmac_f64_e32 v[12:13], v[52:53], v[36:37]
	v_fmac_f64_e32 v[24:25], v[54:55], v[36:37]
	s_wait_xcnt 0x0
	s_delay_alu instid0(VALU_DEP_2) | instskip(NEXT) | instid1(VALU_DEP_2)
	v_fma_f64 v[16:17], -v[54:55], v[38:39], v[12:13]
	v_fmac_f64_e32 v[24:25], v[52:53], v[38:39]
	ds_load_b128 v[12:15], v10 offset:48
	ds_load_b128 v[36:39], v10 offset:64
	v_add_nc_u32_e32 v10, 0x60, v10
	s_wait_dscnt 0x1
	v_fmac_f64_e32 v[16:17], v[12:13], v[40:41]
	v_fmac_f64_e32 v[24:25], v[14:15], v[40:41]
	s_delay_alu instid0(VALU_DEP_2) | instskip(NEXT) | instid1(VALU_DEP_2)
	v_fma_f64 v[14:15], -v[14:15], v[42:43], v[16:17]
	v_fmac_f64_e32 v[24:25], v[12:13], v[42:43]
	s_wait_loadcnt_dscnt 0x0
	s_delay_alu instid0(VALU_DEP_2) | instskip(NEXT) | instid1(VALU_DEP_2)
	v_fmac_f64_e32 v[14:15], v[36:37], v[44:45]
	v_fmac_f64_e32 v[24:25], v[38:39], v[44:45]
	s_delay_alu instid0(VALU_DEP_2) | instskip(NEXT) | instid1(VALU_DEP_2)
	v_fma_f64 v[26:27], -v[38:39], v[46:47], v[14:15]
	v_fmac_f64_e32 v[24:25], v[36:37], v[46:47]
	s_cbranch_scc1 .LBB60_14
	s_branch .LBB60_9
.LBB60_15:                              ;   in Loop: Header=BB60_7 Depth=1
	s_or_b32 exec_lo, exec_lo, s16
.LBB60_16:                              ;   in Loop: Header=BB60_7 Depth=1
	s_delay_alu instid0(SALU_CYCLE_1) | instskip(NEXT) | instid1(SALU_CYCLE_1)
	s_or_b32 exec_lo, exec_lo, s13
	s_mov_b32 s1, exec_lo
	v_cmpx_gt_i32_e64 s22, v22
	s_cbranch_execz .LBB60_6
; %bb.17:                               ;   in Loop: Header=BB60_7 Depth=1
	s_and_saveexec_b32 s13, s4
	s_delay_alu instid0(SALU_CYCLE_1)
	s_xor_b32 s13, exec_lo, s13
	s_cbranch_execz .LBB60_22
; %bb.18:                               ;   in Loop: Header=BB60_7 Depth=1
	s_and_b32 vcc_lo, exec_lo, s12
	s_mov_b32 s16, -1
	s_cbranch_vccz .LBB60_20
; %bb.19:                               ;   in Loop: Header=BB60_7 Depth=1
	v_lshl_add_u64 v[28:29], v[22:23], 4, v[20:21]
	v_mul_f64_e64 v[14:15], v[24:25], -v[4:5]
	v_mul_f64_e32 v[16:17], v[2:3], v[24:25]
	s_mov_b32 s16, 0
	global_load_b128 v[10:13], v[28:29], off
	v_fmac_f64_e32 v[14:15], v[2:3], v[26:27]
	v_fmac_f64_e32 v[16:17], v[4:5], v[26:27]
	s_wait_loadcnt 0x0
	s_delay_alu instid0(VALU_DEP_2) | instskip(NEXT) | instid1(VALU_DEP_2)
	v_fmac_f64_e32 v[14:15], v[6:7], v[10:11]
	v_fmac_f64_e32 v[16:17], v[8:9], v[10:11]
	s_delay_alu instid0(VALU_DEP_2) | instskip(NEXT) | instid1(VALU_DEP_2)
	v_fma_f64 v[14:15], -v[8:9], v[12:13], v[14:15]
	v_fmac_f64_e32 v[16:17], v[6:7], v[12:13]
	global_store_b128 v[28:29], v[14:17], off
.LBB60_20:                              ;   in Loop: Header=BB60_7 Depth=1
	s_and_not1_b32 vcc_lo, exec_lo, s16
	s_cbranch_vccnz .LBB60_22
; %bb.21:                               ;   in Loop: Header=BB60_7 Depth=1
	v_mul_u64_e32 v[10:11], s[14:15], v[22:23]
	s_wait_xcnt 0x0
	v_mul_f64_e64 v[14:15], v[24:25], -v[4:5]
	v_mul_f64_e32 v[16:17], v[2:3], v[24:25]
                                        ; implicit-def: $vgpr24_vgpr25
	s_delay_alu instid0(VALU_DEP_3) | instskip(NEXT) | instid1(VALU_DEP_3)
	v_lshl_add_u64 v[22:23], v[10:11], 4, v[18:19]
	v_fmac_f64_e32 v[14:15], v[2:3], v[26:27]
	s_delay_alu instid0(VALU_DEP_3) | instskip(SKIP_4) | instid1(VALU_DEP_2)
	v_fmac_f64_e32 v[16:17], v[4:5], v[26:27]
                                        ; implicit-def: $vgpr26_vgpr27
	global_load_b128 v[10:13], v[22:23], off
	s_wait_loadcnt 0x0
	v_fmac_f64_e32 v[14:15], v[6:7], v[10:11]
	v_fmac_f64_e32 v[16:17], v[8:9], v[10:11]
	v_fma_f64 v[14:15], -v[8:9], v[12:13], v[14:15]
	s_delay_alu instid0(VALU_DEP_2)
	v_fmac_f64_e32 v[16:17], v[6:7], v[12:13]
	global_store_b128 v[22:23], v[14:17], off
                                        ; implicit-def: $vgpr22
.LBB60_22:                              ;   in Loop: Header=BB60_7 Depth=1
	s_wait_xcnt 0x0
	s_and_not1_saveexec_b32 s13, s13
	s_cbranch_execz .LBB60_6
; %bb.23:                               ;   in Loop: Header=BB60_7 Depth=1
	v_mul_f64_e64 v[10:11], v[24:25], -v[4:5]
	v_mul_f64_e32 v[12:13], v[2:3], v[24:25]
	s_and_b32 vcc_lo, exec_lo, s12
	s_mov_b32 s13, -1
	s_delay_alu instid0(VALU_DEP_2) | instskip(NEXT) | instid1(VALU_DEP_2)
	v_fmac_f64_e32 v[10:11], v[2:3], v[26:27]
	v_fmac_f64_e32 v[12:13], v[4:5], v[26:27]
	s_cbranch_vccz .LBB60_25
; %bb.24:                               ;   in Loop: Header=BB60_7 Depth=1
	v_lshl_add_u64 v[14:15], v[22:23], 4, v[20:21]
	s_mov_b32 s13, 0
	global_store_b128 v[14:15], v[10:13], off
.LBB60_25:                              ;   in Loop: Header=BB60_7 Depth=1
	s_and_not1_b32 vcc_lo, exec_lo, s13
	s_cbranch_vccnz .LBB60_6
; %bb.26:                               ;   in Loop: Header=BB60_7 Depth=1
	s_wait_xcnt 0x0
	v_mul_u64_e32 v[14:15], s[14:15], v[22:23]
	s_delay_alu instid0(VALU_DEP_1)
	v_lshl_add_u64 v[14:15], v[14:15], 4, v[18:19]
	global_store_b128 v[14:15], v[10:13], off
	s_branch .LBB60_6
.LBB60_27:
	s_endpgm
	.section	.rodata,"a",@progbits
	.p2align	6, 0x0
	.amdhsa_kernel _ZN9rocsparseL29bsrmmnt_small_blockdim_kernelILj64ELj64ELj2Eii21rocsparse_complex_numIdES2_S2_S2_EEv20rocsparse_direction_T3_S4_llNS_24const_host_device_scalarIT7_EEPKT2_PKS4_PKT4_PKT5_llS7_PT6_ll16rocsparse_order_21rocsparse_index_base_b
		.amdhsa_group_segment_fixed_size 3328
		.amdhsa_private_segment_fixed_size 0
		.amdhsa_kernarg_size 408
		.amdhsa_user_sgpr_count 2
		.amdhsa_user_sgpr_dispatch_ptr 0
		.amdhsa_user_sgpr_queue_ptr 0
		.amdhsa_user_sgpr_kernarg_segment_ptr 1
		.amdhsa_user_sgpr_dispatch_id 0
		.amdhsa_user_sgpr_kernarg_preload_length 0
		.amdhsa_user_sgpr_kernarg_preload_offset 0
		.amdhsa_user_sgpr_private_segment_size 0
		.amdhsa_wavefront_size32 1
		.amdhsa_uses_dynamic_stack 0
		.amdhsa_enable_private_segment 0
		.amdhsa_system_sgpr_workgroup_id_x 1
		.amdhsa_system_sgpr_workgroup_id_y 0
		.amdhsa_system_sgpr_workgroup_id_z 0
		.amdhsa_system_sgpr_workgroup_info 0
		.amdhsa_system_vgpr_workitem_id 0
		.amdhsa_next_free_vgpr 56
		.amdhsa_next_free_sgpr 23
		.amdhsa_named_barrier_count 0
		.amdhsa_reserve_vcc 1
		.amdhsa_float_round_mode_32 0
		.amdhsa_float_round_mode_16_64 0
		.amdhsa_float_denorm_mode_32 3
		.amdhsa_float_denorm_mode_16_64 3
		.amdhsa_fp16_overflow 0
		.amdhsa_memory_ordered 1
		.amdhsa_forward_progress 1
		.amdhsa_inst_pref_size 12
		.amdhsa_round_robin_scheduling 0
		.amdhsa_exception_fp_ieee_invalid_op 0
		.amdhsa_exception_fp_denorm_src 0
		.amdhsa_exception_fp_ieee_div_zero 0
		.amdhsa_exception_fp_ieee_overflow 0
		.amdhsa_exception_fp_ieee_underflow 0
		.amdhsa_exception_fp_ieee_inexact 0
		.amdhsa_exception_int_div_zero 0
	.end_amdhsa_kernel
	.section	.text._ZN9rocsparseL29bsrmmnt_small_blockdim_kernelILj64ELj64ELj2Eii21rocsparse_complex_numIdES2_S2_S2_EEv20rocsparse_direction_T3_S4_llNS_24const_host_device_scalarIT7_EEPKT2_PKS4_PKT4_PKT5_llS7_PT6_ll16rocsparse_order_21rocsparse_index_base_b,"axG",@progbits,_ZN9rocsparseL29bsrmmnt_small_blockdim_kernelILj64ELj64ELj2Eii21rocsparse_complex_numIdES2_S2_S2_EEv20rocsparse_direction_T3_S4_llNS_24const_host_device_scalarIT7_EEPKT2_PKS4_PKT4_PKT5_llS7_PT6_ll16rocsparse_order_21rocsparse_index_base_b,comdat
.Lfunc_end60:
	.size	_ZN9rocsparseL29bsrmmnt_small_blockdim_kernelILj64ELj64ELj2Eii21rocsparse_complex_numIdES2_S2_S2_EEv20rocsparse_direction_T3_S4_llNS_24const_host_device_scalarIT7_EEPKT2_PKS4_PKT4_PKT5_llS7_PT6_ll16rocsparse_order_21rocsparse_index_base_b, .Lfunc_end60-_ZN9rocsparseL29bsrmmnt_small_blockdim_kernelILj64ELj64ELj2Eii21rocsparse_complex_numIdES2_S2_S2_EEv20rocsparse_direction_T3_S4_llNS_24const_host_device_scalarIT7_EEPKT2_PKS4_PKT4_PKT5_llS7_PT6_ll16rocsparse_order_21rocsparse_index_base_b
                                        ; -- End function
	.set _ZN9rocsparseL29bsrmmnt_small_blockdim_kernelILj64ELj64ELj2Eii21rocsparse_complex_numIdES2_S2_S2_EEv20rocsparse_direction_T3_S4_llNS_24const_host_device_scalarIT7_EEPKT2_PKS4_PKT4_PKT5_llS7_PT6_ll16rocsparse_order_21rocsparse_index_base_b.num_vgpr, 56
	.set _ZN9rocsparseL29bsrmmnt_small_blockdim_kernelILj64ELj64ELj2Eii21rocsparse_complex_numIdES2_S2_S2_EEv20rocsparse_direction_T3_S4_llNS_24const_host_device_scalarIT7_EEPKT2_PKS4_PKT4_PKT5_llS7_PT6_ll16rocsparse_order_21rocsparse_index_base_b.num_agpr, 0
	.set _ZN9rocsparseL29bsrmmnt_small_blockdim_kernelILj64ELj64ELj2Eii21rocsparse_complex_numIdES2_S2_S2_EEv20rocsparse_direction_T3_S4_llNS_24const_host_device_scalarIT7_EEPKT2_PKS4_PKT4_PKT5_llS7_PT6_ll16rocsparse_order_21rocsparse_index_base_b.numbered_sgpr, 23
	.set _ZN9rocsparseL29bsrmmnt_small_blockdim_kernelILj64ELj64ELj2Eii21rocsparse_complex_numIdES2_S2_S2_EEv20rocsparse_direction_T3_S4_llNS_24const_host_device_scalarIT7_EEPKT2_PKS4_PKT4_PKT5_llS7_PT6_ll16rocsparse_order_21rocsparse_index_base_b.num_named_barrier, 0
	.set _ZN9rocsparseL29bsrmmnt_small_blockdim_kernelILj64ELj64ELj2Eii21rocsparse_complex_numIdES2_S2_S2_EEv20rocsparse_direction_T3_S4_llNS_24const_host_device_scalarIT7_EEPKT2_PKS4_PKT4_PKT5_llS7_PT6_ll16rocsparse_order_21rocsparse_index_base_b.private_seg_size, 0
	.set _ZN9rocsparseL29bsrmmnt_small_blockdim_kernelILj64ELj64ELj2Eii21rocsparse_complex_numIdES2_S2_S2_EEv20rocsparse_direction_T3_S4_llNS_24const_host_device_scalarIT7_EEPKT2_PKS4_PKT4_PKT5_llS7_PT6_ll16rocsparse_order_21rocsparse_index_base_b.uses_vcc, 1
	.set _ZN9rocsparseL29bsrmmnt_small_blockdim_kernelILj64ELj64ELj2Eii21rocsparse_complex_numIdES2_S2_S2_EEv20rocsparse_direction_T3_S4_llNS_24const_host_device_scalarIT7_EEPKT2_PKS4_PKT4_PKT5_llS7_PT6_ll16rocsparse_order_21rocsparse_index_base_b.uses_flat_scratch, 0
	.set _ZN9rocsparseL29bsrmmnt_small_blockdim_kernelILj64ELj64ELj2Eii21rocsparse_complex_numIdES2_S2_S2_EEv20rocsparse_direction_T3_S4_llNS_24const_host_device_scalarIT7_EEPKT2_PKS4_PKT4_PKT5_llS7_PT6_ll16rocsparse_order_21rocsparse_index_base_b.has_dyn_sized_stack, 0
	.set _ZN9rocsparseL29bsrmmnt_small_blockdim_kernelILj64ELj64ELj2Eii21rocsparse_complex_numIdES2_S2_S2_EEv20rocsparse_direction_T3_S4_llNS_24const_host_device_scalarIT7_EEPKT2_PKS4_PKT4_PKT5_llS7_PT6_ll16rocsparse_order_21rocsparse_index_base_b.has_recursion, 0
	.set _ZN9rocsparseL29bsrmmnt_small_blockdim_kernelILj64ELj64ELj2Eii21rocsparse_complex_numIdES2_S2_S2_EEv20rocsparse_direction_T3_S4_llNS_24const_host_device_scalarIT7_EEPKT2_PKS4_PKT4_PKT5_llS7_PT6_ll16rocsparse_order_21rocsparse_index_base_b.has_indirect_call, 0
	.section	.AMDGPU.csdata,"",@progbits
; Kernel info:
; codeLenInByte = 1532
; TotalNumSgprs: 25
; NumVgprs: 56
; ScratchSize: 0
; MemoryBound: 0
; FloatMode: 240
; IeeeMode: 1
; LDSByteSize: 3328 bytes/workgroup (compile time only)
; SGPRBlocks: 0
; VGPRBlocks: 3
; NumSGPRsForWavesPerEU: 25
; NumVGPRsForWavesPerEU: 56
; NamedBarCnt: 0
; Occupancy: 16
; WaveLimiterHint : 0
; COMPUTE_PGM_RSRC2:SCRATCH_EN: 0
; COMPUTE_PGM_RSRC2:USER_SGPR: 2
; COMPUTE_PGM_RSRC2:TRAP_HANDLER: 0
; COMPUTE_PGM_RSRC2:TGID_X_EN: 1
; COMPUTE_PGM_RSRC2:TGID_Y_EN: 0
; COMPUTE_PGM_RSRC2:TGID_Z_EN: 0
; COMPUTE_PGM_RSRC2:TIDIG_COMP_CNT: 0
	.section	.text._ZN9rocsparseL29bsrmmnt_small_blockdim_kernelILj64ELj8ELj2Eli21rocsparse_complex_numIdES2_S2_S2_EEv20rocsparse_direction_T3_S4_llNS_24const_host_device_scalarIT7_EEPKT2_PKS4_PKT4_PKT5_llS7_PT6_ll16rocsparse_order_21rocsparse_index_base_b,"axG",@progbits,_ZN9rocsparseL29bsrmmnt_small_blockdim_kernelILj64ELj8ELj2Eli21rocsparse_complex_numIdES2_S2_S2_EEv20rocsparse_direction_T3_S4_llNS_24const_host_device_scalarIT7_EEPKT2_PKS4_PKT4_PKT5_llS7_PT6_ll16rocsparse_order_21rocsparse_index_base_b,comdat
	.globl	_ZN9rocsparseL29bsrmmnt_small_blockdim_kernelILj64ELj8ELj2Eli21rocsparse_complex_numIdES2_S2_S2_EEv20rocsparse_direction_T3_S4_llNS_24const_host_device_scalarIT7_EEPKT2_PKS4_PKT4_PKT5_llS7_PT6_ll16rocsparse_order_21rocsparse_index_base_b ; -- Begin function _ZN9rocsparseL29bsrmmnt_small_blockdim_kernelILj64ELj8ELj2Eli21rocsparse_complex_numIdES2_S2_S2_EEv20rocsparse_direction_T3_S4_llNS_24const_host_device_scalarIT7_EEPKT2_PKS4_PKT4_PKT5_llS7_PT6_ll16rocsparse_order_21rocsparse_index_base_b
	.p2align	8
	.type	_ZN9rocsparseL29bsrmmnt_small_blockdim_kernelILj64ELj8ELj2Eli21rocsparse_complex_numIdES2_S2_S2_EEv20rocsparse_direction_T3_S4_llNS_24const_host_device_scalarIT7_EEPKT2_PKS4_PKT4_PKT5_llS7_PT6_ll16rocsparse_order_21rocsparse_index_base_b,@function
_ZN9rocsparseL29bsrmmnt_small_blockdim_kernelILj64ELj8ELj2Eli21rocsparse_complex_numIdES2_S2_S2_EEv20rocsparse_direction_T3_S4_llNS_24const_host_device_scalarIT7_EEPKT2_PKS4_PKT4_PKT5_llS7_PT6_ll16rocsparse_order_21rocsparse_index_base_b: ; @_ZN9rocsparseL29bsrmmnt_small_blockdim_kernelILj64ELj8ELj2Eli21rocsparse_complex_numIdES2_S2_S2_EEv20rocsparse_direction_T3_S4_llNS_24const_host_device_scalarIT7_EEPKT2_PKS4_PKT4_PKT5_llS7_PT6_ll16rocsparse_order_21rocsparse_index_base_b
; %bb.0:
	s_clause 0x1
	s_load_b96 s[16:18], s[0:1], 0x88
	s_load_b64 s[2:3], s[0:1], 0x20
	v_mov_b32_e32 v1, 0
	s_add_nc_u64 s[4:5], s[0:1], 32
	s_load_b64 s[6:7], s[0:1], 0x60
	s_wait_kmcnt 0x0
	s_bitcmp1_b32 s18, 0
	s_cselect_b32 s3, s5, s3
	s_cselect_b32 s2, s4, s2
	flat_load_b128 v[2:5], v1, s[2:3]
	s_wait_xcnt 0x0
	s_add_nc_u64 s[2:3], s[0:1], 0x60
	s_delay_alu instid0(SALU_CYCLE_1)
	s_cselect_b32 s3, s3, s7
	s_cselect_b32 s2, s2, s6
	flat_load_b128 v[6:9], v1, s[2:3]
	s_wait_loadcnt_dscnt 0x101
	v_cmp_eq_f64_e32 vcc_lo, 0, v[2:3]
	s_wait_xcnt 0x0
	v_cmp_eq_f64_e64 s2, 0, v[4:5]
	s_and_b32 s4, vcc_lo, s2
	s_mov_b32 s2, -1
	s_and_saveexec_b32 s3, s4
	s_cbranch_execz .LBB61_2
; %bb.1:
	s_wait_loadcnt_dscnt 0x0
	v_cmp_neq_f64_e32 vcc_lo, 1.0, v[6:7]
	v_cmp_neq_f64_e64 s2, 0, v[8:9]
	s_or_b32 s2, vcc_lo, s2
	s_delay_alu instid0(SALU_CYCLE_1)
	s_or_not1_b32 s2, s2, exec_lo
.LBB61_2:
	s_or_b32 exec_lo, exec_lo, s3
	s_and_saveexec_b32 s3, s2
	s_cbranch_execz .LBB61_27
; %bb.3:
	s_clause 0x1
	s_load_b32 s2, s[0:1], 0xa4
	s_load_b96 s[20:22], s[0:1], 0x0
	s_bfe_u32 s3, ttmp6, 0x4000c
	s_and_b32 s4, ttmp6, 15
	s_add_co_i32 s3, s3, 1
	s_getreg_b32 s5, hwreg(HW_REG_IB_STS2, 6, 4)
	s_mul_i32 s3, ttmp9, s3
	s_delay_alu instid0(SALU_CYCLE_1) | instskip(SKIP_4) | instid1(SALU_CYCLE_1)
	s_add_co_i32 s4, s4, s3
	s_wait_kmcnt 0x0
	s_and_b32 s2, s2, 0xffff
	s_cmp_eq_u32 s5, 0
	s_cselect_b32 s3, ttmp9, s4
	v_mad_u32 v10, s3, s2, v0
	s_delay_alu instid0(VALU_DEP_1) | instskip(NEXT) | instid1(VALU_DEP_1)
	v_lshrrev_b32_e32 v1, 4, v10
	v_cmp_gt_i32_e32 vcc_lo, s21, v1
	s_and_b32 exec_lo, exec_lo, vcc_lo
	s_cbranch_execz .LBB61_27
; %bb.4:
	s_cmp_lt_i32 s22, 1
	s_cbranch_scc1 .LBB61_27
; %bb.5:
	s_load_b256 s[4:11], s[0:1], 0x30
	v_dual_lshlrev_b32 v1, 3, v1 :: v_dual_lshrrev_b32 v16, 3, v10
	s_wait_loadcnt_dscnt 0x0
	v_cmp_neq_f64_e32 vcc_lo, 0, v[6:7]
	v_cmp_neq_f64_e64 s2, 0, v[8:9]
	s_load_b128 s[12:15], s[0:1], 0x70
	v_bfe_u32 v10, v10, 3, 1
	s_mov_b32 s3, 0
	v_lshrrev_b32_e32 v18, 3, v0
	s_delay_alu instid0(VALU_DEP_1)
	v_mul_u32_u24_e32 v41, 0x180, v18
	v_lshl_or_b32 v40, v18, 5, 0xc00
	s_wait_kmcnt 0x0
	global_load_b128 v[12:15], v1, s[4:5]
	s_wait_xcnt 0x0
	v_mov_b32_e32 v1, 0
	s_load_b64 s[4:5], s[0:1], 0x50
	v_and_b32_e32 v0, 7, v0
	s_or_b32 s18, vcc_lo, s2
	s_cmp_lg_u32 s16, 1
	s_mov_b32 s2, s17
	s_cselect_b32 s16, -1, 0
	s_cmp_eq_u32 s20, 0
	s_wait_xcnt 0x0
	s_cselect_b32 s1, -1, 0
	s_delay_alu instid0(SALU_CYCLE_1) | instskip(SKIP_2) | instid1(VALU_DEP_2)
	v_cndmask_b32_e64 v11, 0, 1, s1
	v_mov_b32_e32 v17, v1
	s_and_b32 s1, s1, exec_lo
	v_lshlrev_b32_e32 v10, v11, v10
	s_delay_alu instid0(VALU_DEP_2)
	v_mul_u64_e32 v[20:21], s[14:15], v[16:17]
	v_mov_b32_e32 v11, v1
	v_mul_u32_u24_e32 v28, 48, v0
	v_lshl_or_b32 v42, v0, 2, v40
	v_lshlrev_b32_e32 v10, 4, v10
	v_lshl_add_u64 v[18:19], v[16:17], 4, s[12:13]
	s_delay_alu instid0(VALU_DEP_4) | instskip(NEXT) | instid1(VALU_DEP_3)
	v_add_nc_u32_e32 v43, v41, v28
	v_add_nc_u64_e32 v[22:23], s[8:9], v[10:11]
	s_cselect_b32 s8, 24, 40
	s_mov_b32 s9, s3
	v_lshl_add_u64 v[20:21], v[20:21], 4, s[12:13]
	s_mov_b32 s12, s3
	s_wait_loadcnt 0x0
	v_sub_nc_u64_e64 v[24:25], v[12:13], s[2:3]
	v_sub_nc_u64_e64 v[26:27], v[14:15], s[2:3]
	v_cmp_lt_i64_e64 s0, v[12:13], v[14:15]
	s_cselect_b32 s2, 16, 32
	s_branch .LBB61_7
.LBB61_6:                               ;   in Loop: Header=BB61_7 Depth=1
	s_wait_xcnt 0x0
	s_or_b32 exec_lo, exec_lo, s1
	s_add_co_i32 s12, s12, 8
	s_delay_alu instid0(SALU_CYCLE_1)
	s_cmp_lt_i32 s12, s22
	s_cbranch_scc0 .LBB61_27
.LBB61_7:                               ; =>This Loop Header: Depth=1
                                        ;     Child Loop BB61_10 Depth 2
                                        ;       Child Loop BB61_14 Depth 3
	v_or_b32_e32 v28, s12, v0
	v_mov_b64_e32 v[30:31], 0
	v_mov_b64_e32 v[32:33], 0
	s_delay_alu instid0(VALU_DEP_3)
	v_ashrrev_i32_e32 v29, 31, v28
	s_and_saveexec_b32 s13, s0
	s_cbranch_execz .LBB61_16
; %bb.8:                                ;   in Loop: Header=BB61_7 Depth=1
	v_mov_b64_e32 v[30:31], 0
	v_mov_b64_e32 v[32:33], 0
	v_mov_b64_e32 v[36:37], v[24:25]
	v_lshl_add_u64 v[34:35], v[28:29], 4, s[10:11]
	s_mov_b32 s19, 0
	v_cmp_gt_i32_e32 vcc_lo, s22, v28
	s_branch .LBB61_10
.LBB61_9:                               ;   in Loop: Header=BB61_10 Depth=2
	s_or_b32 exec_lo, exec_lo, s1
	v_add_nc_u64_e32 v[36:37], 8, v[36:37]
	s_delay_alu instid0(VALU_DEP_1) | instskip(SKIP_1) | instid1(SALU_CYCLE_1)
	v_cmp_ge_i64_e64 s1, v[36:37], v[26:27]
	s_or_b32 s19, s1, s19
	s_and_not1_b32 exec_lo, exec_lo, s19
	s_cbranch_execz .LBB61_15
.LBB61_10:                              ;   Parent Loop BB61_7 Depth=1
                                        ; =>  This Loop Header: Depth=2
                                        ;       Child Loop BB61_14 Depth 3
	s_delay_alu instid0(VALU_DEP_3)
	v_add_nc_u64_e32 v[38:39], v[36:37], v[0:1]
	v_mov_b64_e32 v[14:15], 0
	v_mov_b64_e32 v[16:17], 0
	;; [unrolled: 1-line block ×4, first 2 shown]
	v_mov_b32_e32 v44, 0
	s_mov_b32 s20, exec_lo
	v_cmpx_lt_i64_e64 v[38:39], v[26:27]
	s_cbranch_execz .LBB61_12
; %bb.11:                               ;   in Loop: Header=BB61_10 Depth=2
	v_lshlrev_b64_e32 v[10:11], 6, v[38:39]
	v_lshl_add_u64 v[12:13], v[38:39], 2, s[6:7]
	global_load_b32 v48, v[12:13], off
	v_add_nc_u64_e32 v[38:39], v[22:23], v[10:11]
	s_delay_alu instid0(VALU_DEP_1)
	v_add_nc_u64_e32 v[44:45], s[2:3], v[38:39]
	v_add_nc_u64_e32 v[46:47], s[8:9], v[38:39]
	s_clause 0x2
	global_load_b128 v[14:17], v[38:39], off
	global_load_b64 v[10:11], v[44:45], off
	global_load_b64 v[12:13], v[46:47], off
	s_wait_loadcnt 0x3
	s_wait_xcnt 0x2
	v_subrev_nc_u32_e32 v38, s17, v48
	s_wait_xcnt 0x1
	s_delay_alu instid0(VALU_DEP_1)
	v_lshlrev_b32_e32 v44, 1, v38
.LBB61_12:                              ;   in Loop: Header=BB61_10 Depth=2
	s_wait_xcnt 0x0
	s_or_b32 exec_lo, exec_lo, s20
	ds_store_b32 v42, v44
	s_wait_loadcnt 0x2
	ds_store_b128 v43, v[14:17]
	s_wait_loadcnt 0x0
	ds_store_b128 v43, v[10:13] offset:16
	s_wait_dscnt 0x0
	s_barrier_signal -1
	s_barrier_wait -1
	s_and_saveexec_b32 s1, vcc_lo
	s_cbranch_execz .LBB61_9
; %bb.13:                               ;   in Loop: Header=BB61_10 Depth=2
	v_mov_b32_e32 v10, v41
	s_mov_b32 s20, 0
.LBB61_14:                              ;   Parent Loop BB61_7 Depth=1
                                        ;     Parent Loop BB61_10 Depth=2
                                        ; =>    This Inner Loop Header: Depth=3
	s_delay_alu instid0(SALU_CYCLE_1) | instskip(SKIP_1) | instid1(SALU_CYCLE_1)
	v_add_nc_u32_e32 v11, s20, v40
	s_add_co_i32 s20, s20, 8
	s_cmp_lg_u32 s20, 32
	ds_load_b64 v[16:17], v11
	s_wait_dscnt 0x0
	v_dual_ashrrev_i32 v13, 31, v16 :: v_dual_add_nc_u32 v38, 1, v16
	v_dual_mov_b32 v12, v16 :: v_dual_add_nc_u32 v16, 1, v17
	s_delay_alu instid0(VALU_DEP_2) | instskip(SKIP_1) | instid1(VALU_DEP_2)
	v_ashrrev_i32_e32 v39, 31, v38
	s_wait_kmcnt 0x0
	v_mul_u64_e32 v[12:13], s[4:5], v[12:13]
	s_delay_alu instid0(VALU_DEP_2) | instskip(NEXT) | instid1(VALU_DEP_2)
	v_mul_u64_e32 v[38:39], s[4:5], v[38:39]
	v_lshl_add_u64 v[12:13], v[12:13], 4, v[34:35]
	s_delay_alu instid0(VALU_DEP_2)
	v_lshl_add_u64 v[38:39], v[38:39], 4, v[34:35]
	s_clause 0x1
	global_load_b128 v[12:15], v[12:13], off
	global_load_b128 v[44:47], v[38:39], off
	s_wait_xcnt 0x0
	v_dual_mov_b32 v38, v17 :: v_dual_ashrrev_i32 v39, 31, v17
	v_ashrrev_i32_e32 v17, 31, v16
	s_delay_alu instid0(VALU_DEP_2) | instskip(NEXT) | instid1(VALU_DEP_2)
	v_mul_u64_e32 v[38:39], s[4:5], v[38:39]
	v_mul_u64_e32 v[16:17], s[4:5], v[16:17]
	s_delay_alu instid0(VALU_DEP_2) | instskip(NEXT) | instid1(VALU_DEP_2)
	v_lshl_add_u64 v[38:39], v[38:39], 4, v[34:35]
	v_lshl_add_u64 v[16:17], v[16:17], 4, v[34:35]
	s_clause 0x1
	global_load_b128 v[48:51], v[38:39], off
	global_load_b128 v[52:55], v[16:17], off
	ds_load_b128 v[56:59], v10
	ds_load_b128 v[60:63], v10 offset:16
	s_wait_loadcnt_dscnt 0x301
	v_fmac_f64_e32 v[32:33], v[56:57], v[12:13]
	v_fmac_f64_e32 v[30:31], v[58:59], v[12:13]
	s_delay_alu instid0(VALU_DEP_2) | instskip(NEXT) | instid1(VALU_DEP_2)
	v_fma_f64 v[12:13], -v[58:59], v[14:15], v[32:33]
	v_fmac_f64_e32 v[30:31], v[56:57], v[14:15]
	s_wait_loadcnt_dscnt 0x200
	s_delay_alu instid0(VALU_DEP_2) | instskip(NEXT) | instid1(VALU_DEP_2)
	v_fmac_f64_e32 v[12:13], v[60:61], v[44:45]
	v_fmac_f64_e32 v[30:31], v[62:63], v[44:45]
	s_wait_xcnt 0x0
	s_delay_alu instid0(VALU_DEP_2) | instskip(NEXT) | instid1(VALU_DEP_2)
	v_fma_f64 v[16:17], -v[62:63], v[46:47], v[12:13]
	v_fmac_f64_e32 v[30:31], v[60:61], v[46:47]
	ds_load_b128 v[12:15], v10 offset:48
	ds_load_b128 v[44:47], v10 offset:64
	v_add_nc_u32_e32 v10, 0x60, v10
	s_wait_loadcnt_dscnt 0x101
	v_fmac_f64_e32 v[16:17], v[12:13], v[48:49]
	v_fmac_f64_e32 v[30:31], v[14:15], v[48:49]
	s_delay_alu instid0(VALU_DEP_2) | instskip(NEXT) | instid1(VALU_DEP_2)
	v_fma_f64 v[14:15], -v[14:15], v[50:51], v[16:17]
	v_fmac_f64_e32 v[30:31], v[12:13], v[50:51]
	s_wait_loadcnt_dscnt 0x0
	s_delay_alu instid0(VALU_DEP_2) | instskip(NEXT) | instid1(VALU_DEP_2)
	v_fmac_f64_e32 v[14:15], v[44:45], v[52:53]
	v_fmac_f64_e32 v[30:31], v[46:47], v[52:53]
	s_delay_alu instid0(VALU_DEP_2) | instskip(NEXT) | instid1(VALU_DEP_2)
	v_fma_f64 v[32:33], -v[46:47], v[54:55], v[14:15]
	v_fmac_f64_e32 v[30:31], v[44:45], v[54:55]
	s_cbranch_scc1 .LBB61_14
	s_branch .LBB61_9
.LBB61_15:                              ;   in Loop: Header=BB61_7 Depth=1
	s_or_b32 exec_lo, exec_lo, s19
.LBB61_16:                              ;   in Loop: Header=BB61_7 Depth=1
	s_delay_alu instid0(SALU_CYCLE_1) | instskip(NEXT) | instid1(SALU_CYCLE_1)
	s_or_b32 exec_lo, exec_lo, s13
	s_mov_b32 s1, exec_lo
	v_cmpx_gt_i32_e64 s22, v28
	s_cbranch_execz .LBB61_6
; %bb.17:                               ;   in Loop: Header=BB61_7 Depth=1
	s_and_saveexec_b32 s13, s18
	s_delay_alu instid0(SALU_CYCLE_1)
	s_xor_b32 s13, exec_lo, s13
	s_cbranch_execz .LBB61_22
; %bb.18:                               ;   in Loop: Header=BB61_7 Depth=1
	s_and_b32 vcc_lo, exec_lo, s16
	s_mov_b32 s19, -1
	s_cbranch_vccz .LBB61_20
; %bb.19:                               ;   in Loop: Header=BB61_7 Depth=1
	v_lshl_add_u64 v[34:35], v[28:29], 4, v[20:21]
	v_mul_f64_e64 v[14:15], v[30:31], -v[4:5]
	v_mul_f64_e32 v[16:17], v[2:3], v[30:31]
	s_mov_b32 s19, 0
	global_load_b128 v[10:13], v[34:35], off
	v_fmac_f64_e32 v[14:15], v[2:3], v[32:33]
	v_fmac_f64_e32 v[16:17], v[4:5], v[32:33]
	s_wait_loadcnt 0x0
	s_delay_alu instid0(VALU_DEP_2) | instskip(NEXT) | instid1(VALU_DEP_2)
	v_fmac_f64_e32 v[14:15], v[6:7], v[10:11]
	v_fmac_f64_e32 v[16:17], v[8:9], v[10:11]
	s_delay_alu instid0(VALU_DEP_2) | instskip(NEXT) | instid1(VALU_DEP_2)
	v_fma_f64 v[14:15], -v[8:9], v[12:13], v[14:15]
	v_fmac_f64_e32 v[16:17], v[6:7], v[12:13]
	global_store_b128 v[34:35], v[14:17], off
.LBB61_20:                              ;   in Loop: Header=BB61_7 Depth=1
	s_and_not1_b32 vcc_lo, exec_lo, s19
	s_cbranch_vccnz .LBB61_22
; %bb.21:                               ;   in Loop: Header=BB61_7 Depth=1
	v_mul_u64_e32 v[10:11], s[14:15], v[28:29]
	s_wait_xcnt 0x0
	v_mul_f64_e64 v[14:15], v[30:31], -v[4:5]
	v_mul_f64_e32 v[16:17], v[2:3], v[30:31]
                                        ; implicit-def: $vgpr30_vgpr31
	s_delay_alu instid0(VALU_DEP_3) | instskip(NEXT) | instid1(VALU_DEP_3)
	v_lshl_add_u64 v[28:29], v[10:11], 4, v[18:19]
	v_fmac_f64_e32 v[14:15], v[2:3], v[32:33]
	s_delay_alu instid0(VALU_DEP_3) | instskip(SKIP_4) | instid1(VALU_DEP_2)
	v_fmac_f64_e32 v[16:17], v[4:5], v[32:33]
                                        ; implicit-def: $vgpr32_vgpr33
	global_load_b128 v[10:13], v[28:29], off
	s_wait_loadcnt 0x0
	v_fmac_f64_e32 v[14:15], v[6:7], v[10:11]
	v_fmac_f64_e32 v[16:17], v[8:9], v[10:11]
	v_fma_f64 v[14:15], -v[8:9], v[12:13], v[14:15]
	s_delay_alu instid0(VALU_DEP_2)
	v_fmac_f64_e32 v[16:17], v[6:7], v[12:13]
	global_store_b128 v[28:29], v[14:17], off
                                        ; implicit-def: $vgpr28
.LBB61_22:                              ;   in Loop: Header=BB61_7 Depth=1
	s_wait_xcnt 0x0
	s_and_not1_saveexec_b32 s13, s13
	s_cbranch_execz .LBB61_6
; %bb.23:                               ;   in Loop: Header=BB61_7 Depth=1
	v_mul_f64_e64 v[10:11], v[30:31], -v[4:5]
	v_mul_f64_e32 v[12:13], v[2:3], v[30:31]
	s_and_b32 vcc_lo, exec_lo, s16
	s_mov_b32 s13, -1
	s_delay_alu instid0(VALU_DEP_2) | instskip(NEXT) | instid1(VALU_DEP_2)
	v_fmac_f64_e32 v[10:11], v[2:3], v[32:33]
	v_fmac_f64_e32 v[12:13], v[4:5], v[32:33]
	s_cbranch_vccz .LBB61_25
; %bb.24:                               ;   in Loop: Header=BB61_7 Depth=1
	v_lshl_add_u64 v[14:15], v[28:29], 4, v[20:21]
	s_mov_b32 s13, 0
	global_store_b128 v[14:15], v[10:13], off
.LBB61_25:                              ;   in Loop: Header=BB61_7 Depth=1
	s_and_not1_b32 vcc_lo, exec_lo, s13
	s_cbranch_vccnz .LBB61_6
; %bb.26:                               ;   in Loop: Header=BB61_7 Depth=1
	s_wait_xcnt 0x0
	v_mul_u64_e32 v[14:15], s[14:15], v[28:29]
	s_delay_alu instid0(VALU_DEP_1)
	v_lshl_add_u64 v[14:15], v[14:15], 4, v[18:19]
	global_store_b128 v[14:15], v[10:13], off
	s_branch .LBB61_6
.LBB61_27:
	s_endpgm
	.section	.rodata,"a",@progbits
	.p2align	6, 0x0
	.amdhsa_kernel _ZN9rocsparseL29bsrmmnt_small_blockdim_kernelILj64ELj8ELj2Eli21rocsparse_complex_numIdES2_S2_S2_EEv20rocsparse_direction_T3_S4_llNS_24const_host_device_scalarIT7_EEPKT2_PKS4_PKT4_PKT5_llS7_PT6_ll16rocsparse_order_21rocsparse_index_base_b
		.amdhsa_group_segment_fixed_size 3328
		.amdhsa_private_segment_fixed_size 0
		.amdhsa_kernarg_size 408
		.amdhsa_user_sgpr_count 2
		.amdhsa_user_sgpr_dispatch_ptr 0
		.amdhsa_user_sgpr_queue_ptr 0
		.amdhsa_user_sgpr_kernarg_segment_ptr 1
		.amdhsa_user_sgpr_dispatch_id 0
		.amdhsa_user_sgpr_kernarg_preload_length 0
		.amdhsa_user_sgpr_kernarg_preload_offset 0
		.amdhsa_user_sgpr_private_segment_size 0
		.amdhsa_wavefront_size32 1
		.amdhsa_uses_dynamic_stack 0
		.amdhsa_enable_private_segment 0
		.amdhsa_system_sgpr_workgroup_id_x 1
		.amdhsa_system_sgpr_workgroup_id_y 0
		.amdhsa_system_sgpr_workgroup_id_z 0
		.amdhsa_system_sgpr_workgroup_info 0
		.amdhsa_system_vgpr_workitem_id 0
		.amdhsa_next_free_vgpr 64
		.amdhsa_next_free_sgpr 23
		.amdhsa_named_barrier_count 0
		.amdhsa_reserve_vcc 1
		.amdhsa_float_round_mode_32 0
		.amdhsa_float_round_mode_16_64 0
		.amdhsa_float_denorm_mode_32 3
		.amdhsa_float_denorm_mode_16_64 3
		.amdhsa_fp16_overflow 0
		.amdhsa_memory_ordered 1
		.amdhsa_forward_progress 1
		.amdhsa_inst_pref_size 13
		.amdhsa_round_robin_scheduling 0
		.amdhsa_exception_fp_ieee_invalid_op 0
		.amdhsa_exception_fp_denorm_src 0
		.amdhsa_exception_fp_ieee_div_zero 0
		.amdhsa_exception_fp_ieee_overflow 0
		.amdhsa_exception_fp_ieee_underflow 0
		.amdhsa_exception_fp_ieee_inexact 0
		.amdhsa_exception_int_div_zero 0
	.end_amdhsa_kernel
	.section	.text._ZN9rocsparseL29bsrmmnt_small_blockdim_kernelILj64ELj8ELj2Eli21rocsparse_complex_numIdES2_S2_S2_EEv20rocsparse_direction_T3_S4_llNS_24const_host_device_scalarIT7_EEPKT2_PKS4_PKT4_PKT5_llS7_PT6_ll16rocsparse_order_21rocsparse_index_base_b,"axG",@progbits,_ZN9rocsparseL29bsrmmnt_small_blockdim_kernelILj64ELj8ELj2Eli21rocsparse_complex_numIdES2_S2_S2_EEv20rocsparse_direction_T3_S4_llNS_24const_host_device_scalarIT7_EEPKT2_PKS4_PKT4_PKT5_llS7_PT6_ll16rocsparse_order_21rocsparse_index_base_b,comdat
.Lfunc_end61:
	.size	_ZN9rocsparseL29bsrmmnt_small_blockdim_kernelILj64ELj8ELj2Eli21rocsparse_complex_numIdES2_S2_S2_EEv20rocsparse_direction_T3_S4_llNS_24const_host_device_scalarIT7_EEPKT2_PKS4_PKT4_PKT5_llS7_PT6_ll16rocsparse_order_21rocsparse_index_base_b, .Lfunc_end61-_ZN9rocsparseL29bsrmmnt_small_blockdim_kernelILj64ELj8ELj2Eli21rocsparse_complex_numIdES2_S2_S2_EEv20rocsparse_direction_T3_S4_llNS_24const_host_device_scalarIT7_EEPKT2_PKS4_PKT4_PKT5_llS7_PT6_ll16rocsparse_order_21rocsparse_index_base_b
                                        ; -- End function
	.set _ZN9rocsparseL29bsrmmnt_small_blockdim_kernelILj64ELj8ELj2Eli21rocsparse_complex_numIdES2_S2_S2_EEv20rocsparse_direction_T3_S4_llNS_24const_host_device_scalarIT7_EEPKT2_PKS4_PKT4_PKT5_llS7_PT6_ll16rocsparse_order_21rocsparse_index_base_b.num_vgpr, 64
	.set _ZN9rocsparseL29bsrmmnt_small_blockdim_kernelILj64ELj8ELj2Eli21rocsparse_complex_numIdES2_S2_S2_EEv20rocsparse_direction_T3_S4_llNS_24const_host_device_scalarIT7_EEPKT2_PKS4_PKT4_PKT5_llS7_PT6_ll16rocsparse_order_21rocsparse_index_base_b.num_agpr, 0
	.set _ZN9rocsparseL29bsrmmnt_small_blockdim_kernelILj64ELj8ELj2Eli21rocsparse_complex_numIdES2_S2_S2_EEv20rocsparse_direction_T3_S4_llNS_24const_host_device_scalarIT7_EEPKT2_PKS4_PKT4_PKT5_llS7_PT6_ll16rocsparse_order_21rocsparse_index_base_b.numbered_sgpr, 23
	.set _ZN9rocsparseL29bsrmmnt_small_blockdim_kernelILj64ELj8ELj2Eli21rocsparse_complex_numIdES2_S2_S2_EEv20rocsparse_direction_T3_S4_llNS_24const_host_device_scalarIT7_EEPKT2_PKS4_PKT4_PKT5_llS7_PT6_ll16rocsparse_order_21rocsparse_index_base_b.num_named_barrier, 0
	.set _ZN9rocsparseL29bsrmmnt_small_blockdim_kernelILj64ELj8ELj2Eli21rocsparse_complex_numIdES2_S2_S2_EEv20rocsparse_direction_T3_S4_llNS_24const_host_device_scalarIT7_EEPKT2_PKS4_PKT4_PKT5_llS7_PT6_ll16rocsparse_order_21rocsparse_index_base_b.private_seg_size, 0
	.set _ZN9rocsparseL29bsrmmnt_small_blockdim_kernelILj64ELj8ELj2Eli21rocsparse_complex_numIdES2_S2_S2_EEv20rocsparse_direction_T3_S4_llNS_24const_host_device_scalarIT7_EEPKT2_PKS4_PKT4_PKT5_llS7_PT6_ll16rocsparse_order_21rocsparse_index_base_b.uses_vcc, 1
	.set _ZN9rocsparseL29bsrmmnt_small_blockdim_kernelILj64ELj8ELj2Eli21rocsparse_complex_numIdES2_S2_S2_EEv20rocsparse_direction_T3_S4_llNS_24const_host_device_scalarIT7_EEPKT2_PKS4_PKT4_PKT5_llS7_PT6_ll16rocsparse_order_21rocsparse_index_base_b.uses_flat_scratch, 0
	.set _ZN9rocsparseL29bsrmmnt_small_blockdim_kernelILj64ELj8ELj2Eli21rocsparse_complex_numIdES2_S2_S2_EEv20rocsparse_direction_T3_S4_llNS_24const_host_device_scalarIT7_EEPKT2_PKS4_PKT4_PKT5_llS7_PT6_ll16rocsparse_order_21rocsparse_index_base_b.has_dyn_sized_stack, 0
	.set _ZN9rocsparseL29bsrmmnt_small_blockdim_kernelILj64ELj8ELj2Eli21rocsparse_complex_numIdES2_S2_S2_EEv20rocsparse_direction_T3_S4_llNS_24const_host_device_scalarIT7_EEPKT2_PKS4_PKT4_PKT5_llS7_PT6_ll16rocsparse_order_21rocsparse_index_base_b.has_recursion, 0
	.set _ZN9rocsparseL29bsrmmnt_small_blockdim_kernelILj64ELj8ELj2Eli21rocsparse_complex_numIdES2_S2_S2_EEv20rocsparse_direction_T3_S4_llNS_24const_host_device_scalarIT7_EEPKT2_PKS4_PKT4_PKT5_llS7_PT6_ll16rocsparse_order_21rocsparse_index_base_b.has_indirect_call, 0
	.section	.AMDGPU.csdata,"",@progbits
; Kernel info:
; codeLenInByte = 1632
; TotalNumSgprs: 25
; NumVgprs: 64
; ScratchSize: 0
; MemoryBound: 0
; FloatMode: 240
; IeeeMode: 1
; LDSByteSize: 3328 bytes/workgroup (compile time only)
; SGPRBlocks: 0
; VGPRBlocks: 3
; NumSGPRsForWavesPerEU: 25
; NumVGPRsForWavesPerEU: 64
; NamedBarCnt: 0
; Occupancy: 16
; WaveLimiterHint : 0
; COMPUTE_PGM_RSRC2:SCRATCH_EN: 0
; COMPUTE_PGM_RSRC2:USER_SGPR: 2
; COMPUTE_PGM_RSRC2:TRAP_HANDLER: 0
; COMPUTE_PGM_RSRC2:TGID_X_EN: 1
; COMPUTE_PGM_RSRC2:TGID_Y_EN: 0
; COMPUTE_PGM_RSRC2:TGID_Z_EN: 0
; COMPUTE_PGM_RSRC2:TIDIG_COMP_CNT: 0
	.section	.text._ZN9rocsparseL29bsrmmnt_small_blockdim_kernelILj64ELj16ELj2Eli21rocsparse_complex_numIdES2_S2_S2_EEv20rocsparse_direction_T3_S4_llNS_24const_host_device_scalarIT7_EEPKT2_PKS4_PKT4_PKT5_llS7_PT6_ll16rocsparse_order_21rocsparse_index_base_b,"axG",@progbits,_ZN9rocsparseL29bsrmmnt_small_blockdim_kernelILj64ELj16ELj2Eli21rocsparse_complex_numIdES2_S2_S2_EEv20rocsparse_direction_T3_S4_llNS_24const_host_device_scalarIT7_EEPKT2_PKS4_PKT4_PKT5_llS7_PT6_ll16rocsparse_order_21rocsparse_index_base_b,comdat
	.globl	_ZN9rocsparseL29bsrmmnt_small_blockdim_kernelILj64ELj16ELj2Eli21rocsparse_complex_numIdES2_S2_S2_EEv20rocsparse_direction_T3_S4_llNS_24const_host_device_scalarIT7_EEPKT2_PKS4_PKT4_PKT5_llS7_PT6_ll16rocsparse_order_21rocsparse_index_base_b ; -- Begin function _ZN9rocsparseL29bsrmmnt_small_blockdim_kernelILj64ELj16ELj2Eli21rocsparse_complex_numIdES2_S2_S2_EEv20rocsparse_direction_T3_S4_llNS_24const_host_device_scalarIT7_EEPKT2_PKS4_PKT4_PKT5_llS7_PT6_ll16rocsparse_order_21rocsparse_index_base_b
	.p2align	8
	.type	_ZN9rocsparseL29bsrmmnt_small_blockdim_kernelILj64ELj16ELj2Eli21rocsparse_complex_numIdES2_S2_S2_EEv20rocsparse_direction_T3_S4_llNS_24const_host_device_scalarIT7_EEPKT2_PKS4_PKT4_PKT5_llS7_PT6_ll16rocsparse_order_21rocsparse_index_base_b,@function
_ZN9rocsparseL29bsrmmnt_small_blockdim_kernelILj64ELj16ELj2Eli21rocsparse_complex_numIdES2_S2_S2_EEv20rocsparse_direction_T3_S4_llNS_24const_host_device_scalarIT7_EEPKT2_PKS4_PKT4_PKT5_llS7_PT6_ll16rocsparse_order_21rocsparse_index_base_b: ; @_ZN9rocsparseL29bsrmmnt_small_blockdim_kernelILj64ELj16ELj2Eli21rocsparse_complex_numIdES2_S2_S2_EEv20rocsparse_direction_T3_S4_llNS_24const_host_device_scalarIT7_EEPKT2_PKS4_PKT4_PKT5_llS7_PT6_ll16rocsparse_order_21rocsparse_index_base_b
; %bb.0:
	s_clause 0x1
	s_load_b96 s[16:18], s[0:1], 0x88
	s_load_b64 s[2:3], s[0:1], 0x20
	v_mov_b32_e32 v1, 0
	s_add_nc_u64 s[4:5], s[0:1], 32
	s_load_b64 s[6:7], s[0:1], 0x60
	s_wait_kmcnt 0x0
	s_bitcmp1_b32 s18, 0
	s_cselect_b32 s3, s5, s3
	s_cselect_b32 s2, s4, s2
	flat_load_b128 v[2:5], v1, s[2:3]
	s_wait_xcnt 0x0
	s_add_nc_u64 s[2:3], s[0:1], 0x60
	s_delay_alu instid0(SALU_CYCLE_1)
	s_cselect_b32 s3, s3, s7
	s_cselect_b32 s2, s2, s6
	flat_load_b128 v[6:9], v1, s[2:3]
	s_wait_loadcnt_dscnt 0x101
	v_cmp_eq_f64_e32 vcc_lo, 0, v[2:3]
	s_wait_xcnt 0x0
	v_cmp_eq_f64_e64 s2, 0, v[4:5]
	s_and_b32 s4, vcc_lo, s2
	s_mov_b32 s2, -1
	s_and_saveexec_b32 s3, s4
	s_cbranch_execz .LBB62_2
; %bb.1:
	s_wait_loadcnt_dscnt 0x0
	v_cmp_neq_f64_e32 vcc_lo, 1.0, v[6:7]
	v_cmp_neq_f64_e64 s2, 0, v[8:9]
	s_or_b32 s2, vcc_lo, s2
	s_delay_alu instid0(SALU_CYCLE_1)
	s_or_not1_b32 s2, s2, exec_lo
.LBB62_2:
	s_or_b32 exec_lo, exec_lo, s3
	s_and_saveexec_b32 s3, s2
	s_cbranch_execz .LBB62_27
; %bb.3:
	s_clause 0x1
	s_load_b32 s2, s[0:1], 0xa4
	s_load_b96 s[20:22], s[0:1], 0x0
	s_bfe_u32 s3, ttmp6, 0x4000c
	s_and_b32 s4, ttmp6, 15
	s_add_co_i32 s3, s3, 1
	s_getreg_b32 s5, hwreg(HW_REG_IB_STS2, 6, 4)
	s_mul_i32 s3, ttmp9, s3
	s_delay_alu instid0(SALU_CYCLE_1) | instskip(SKIP_4) | instid1(SALU_CYCLE_1)
	s_add_co_i32 s4, s4, s3
	s_wait_kmcnt 0x0
	s_and_b32 s2, s2, 0xffff
	s_cmp_eq_u32 s5, 0
	s_cselect_b32 s3, ttmp9, s4
	v_mad_u32 v10, s3, s2, v0
	s_delay_alu instid0(VALU_DEP_1) | instskip(NEXT) | instid1(VALU_DEP_1)
	v_lshrrev_b32_e32 v1, 5, v10
	v_cmp_gt_i32_e32 vcc_lo, s21, v1
	s_and_b32 exec_lo, exec_lo, vcc_lo
	s_cbranch_execz .LBB62_27
; %bb.4:
	s_cmp_lt_i32 s22, 1
	s_cbranch_scc1 .LBB62_27
; %bb.5:
	s_load_b256 s[4:11], s[0:1], 0x30
	v_dual_lshlrev_b32 v1, 3, v1 :: v_dual_lshrrev_b32 v16, 4, v10
	s_wait_loadcnt_dscnt 0x0
	v_cmp_neq_f64_e32 vcc_lo, 0, v[6:7]
	v_cmp_neq_f64_e64 s2, 0, v[8:9]
	s_load_b128 s[12:15], s[0:1], 0x70
	v_bfe_u32 v11, v10, 4, 1
	s_mov_b32 s3, 0
	v_dual_lshrrev_b32 v19, 4, v0 :: v_dual_bitop2_b32 v0, 15, v0 bitop3:0x40
	s_delay_alu instid0(VALU_DEP_1) | instskip(SKIP_1) | instid1(VALU_DEP_3)
	v_mul_u32_u24_e32 v41, 0x300, v19
	v_lshl_or_b32 v40, v19, 6, 0xc00
	v_mul_u32_u24_e32 v28, 48, v0
	s_delay_alu instid0(VALU_DEP_2)
	v_lshl_or_b32 v42, v0, 2, v40
	s_wait_kmcnt 0x0
	global_load_b128 v[12:15], v1, s[4:5]
	s_wait_xcnt 0x0
	v_mov_b32_e32 v1, 0
	s_load_b64 s[4:5], s[0:1], 0x50
	v_add_nc_u32_e32 v43, v41, v28
	s_delay_alu instid0(VALU_DEP_2) | instskip(NEXT) | instid1(VALU_DEP_1)
	v_dual_mov_b32 v17, v1 :: v_dual_mov_b32 v23, v1
	v_mul_u64_e32 v[16:17], s[14:15], v[16:17]
	s_or_b32 s18, vcc_lo, s2
	s_cmp_lg_u32 s16, 1
	s_mov_b32 s2, s17
	s_cselect_b32 s16, -1, 0
	s_cmp_eq_u32 s20, 0
	s_wait_xcnt 0x0
	s_cselect_b32 s1, -1, 0
	s_delay_alu instid0(SALU_CYCLE_1) | instskip(SKIP_2) | instid1(VALU_DEP_2)
	v_cndmask_b32_e64 v18, 0, 1, s1
	v_and_b32_e32 v10, -16, v10
	s_and_b32 s1, s1, exec_lo
	v_dual_mov_b32 v11, v1 :: v_dual_lshlrev_b32 v18, v18, v11
	s_delay_alu instid0(VALU_DEP_1) | instskip(NEXT) | instid1(VALU_DEP_2)
	v_lshlrev_b32_e32 v22, 4, v18
	v_add_nc_u64_e32 v[18:19], s[12:13], v[10:11]
	s_delay_alu instid0(VALU_DEP_2)
	v_add_nc_u64_e32 v[22:23], s[8:9], v[22:23]
	s_cselect_b32 s8, 24, 40
	s_mov_b32 s9, s3
	v_lshl_add_u64 v[20:21], v[16:17], 4, s[12:13]
	s_mov_b32 s12, s3
	s_wait_loadcnt 0x0
	v_sub_nc_u64_e64 v[24:25], v[12:13], s[2:3]
	v_sub_nc_u64_e64 v[26:27], v[14:15], s[2:3]
	v_cmp_lt_i64_e64 s0, v[12:13], v[14:15]
	s_cselect_b32 s2, 16, 32
	s_branch .LBB62_7
.LBB62_6:                               ;   in Loop: Header=BB62_7 Depth=1
	s_wait_xcnt 0x0
	s_or_b32 exec_lo, exec_lo, s1
	s_add_co_i32 s12, s12, 16
	s_delay_alu instid0(SALU_CYCLE_1)
	s_cmp_lt_i32 s12, s22
	s_cbranch_scc0 .LBB62_27
.LBB62_7:                               ; =>This Loop Header: Depth=1
                                        ;     Child Loop BB62_10 Depth 2
                                        ;       Child Loop BB62_14 Depth 3
	v_or_b32_e32 v28, s12, v0
	v_mov_b64_e32 v[30:31], 0
	v_mov_b64_e32 v[32:33], 0
	s_delay_alu instid0(VALU_DEP_3)
	v_ashrrev_i32_e32 v29, 31, v28
	s_and_saveexec_b32 s13, s0
	s_cbranch_execz .LBB62_16
; %bb.8:                                ;   in Loop: Header=BB62_7 Depth=1
	v_mov_b64_e32 v[30:31], 0
	v_mov_b64_e32 v[32:33], 0
	;; [unrolled: 1-line block ×3, first 2 shown]
	v_lshl_add_u64 v[34:35], v[28:29], 4, s[10:11]
	s_mov_b32 s19, 0
	v_cmp_gt_i32_e32 vcc_lo, s22, v28
	s_branch .LBB62_10
.LBB62_9:                               ;   in Loop: Header=BB62_10 Depth=2
	s_or_b32 exec_lo, exec_lo, s1
	v_add_nc_u64_e32 v[36:37], 16, v[36:37]
	s_delay_alu instid0(VALU_DEP_1) | instskip(SKIP_1) | instid1(SALU_CYCLE_1)
	v_cmp_ge_i64_e64 s1, v[36:37], v[26:27]
	s_or_b32 s19, s1, s19
	s_and_not1_b32 exec_lo, exec_lo, s19
	s_cbranch_execz .LBB62_15
.LBB62_10:                              ;   Parent Loop BB62_7 Depth=1
                                        ; =>  This Loop Header: Depth=2
                                        ;       Child Loop BB62_14 Depth 3
	s_delay_alu instid0(VALU_DEP_3)
	v_add_nc_u64_e32 v[38:39], v[36:37], v[0:1]
	v_mov_b64_e32 v[14:15], 0
	v_mov_b64_e32 v[16:17], 0
	;; [unrolled: 1-line block ×4, first 2 shown]
	v_mov_b32_e32 v44, 0
	s_mov_b32 s20, exec_lo
	v_cmpx_lt_i64_e64 v[38:39], v[26:27]
	s_cbranch_execz .LBB62_12
; %bb.11:                               ;   in Loop: Header=BB62_10 Depth=2
	v_lshlrev_b64_e32 v[10:11], 6, v[38:39]
	v_lshl_add_u64 v[12:13], v[38:39], 2, s[6:7]
	global_load_b32 v48, v[12:13], off
	v_add_nc_u64_e32 v[38:39], v[22:23], v[10:11]
	s_delay_alu instid0(VALU_DEP_1)
	v_add_nc_u64_e32 v[44:45], s[2:3], v[38:39]
	v_add_nc_u64_e32 v[46:47], s[8:9], v[38:39]
	s_clause 0x2
	global_load_b128 v[14:17], v[38:39], off
	global_load_b64 v[10:11], v[44:45], off
	global_load_b64 v[12:13], v[46:47], off
	s_wait_loadcnt 0x3
	s_wait_xcnt 0x2
	v_subrev_nc_u32_e32 v38, s17, v48
	s_wait_xcnt 0x1
	s_delay_alu instid0(VALU_DEP_1)
	v_lshlrev_b32_e32 v44, 1, v38
.LBB62_12:                              ;   in Loop: Header=BB62_10 Depth=2
	s_wait_xcnt 0x0
	s_or_b32 exec_lo, exec_lo, s20
	ds_store_b32 v42, v44
	s_wait_loadcnt 0x2
	ds_store_b128 v43, v[14:17]
	s_wait_loadcnt 0x0
	ds_store_b128 v43, v[10:13] offset:16
	s_wait_dscnt 0x0
	s_barrier_signal -1
	s_barrier_wait -1
	s_and_saveexec_b32 s1, vcc_lo
	s_cbranch_execz .LBB62_9
; %bb.13:                               ;   in Loop: Header=BB62_10 Depth=2
	v_mov_b32_e32 v10, v41
	s_mov_b32 s20, 0
.LBB62_14:                              ;   Parent Loop BB62_7 Depth=1
                                        ;     Parent Loop BB62_10 Depth=2
                                        ; =>    This Inner Loop Header: Depth=3
	s_delay_alu instid0(SALU_CYCLE_1) | instskip(SKIP_1) | instid1(SALU_CYCLE_1)
	v_add_nc_u32_e32 v11, s20, v40
	s_add_co_i32 s20, s20, 8
	s_cmp_lg_u32 s20, 64
	ds_load_b64 v[16:17], v11
	s_wait_dscnt 0x0
	v_dual_ashrrev_i32 v13, 31, v16 :: v_dual_add_nc_u32 v38, 1, v16
	v_dual_mov_b32 v12, v16 :: v_dual_add_nc_u32 v16, 1, v17
	s_delay_alu instid0(VALU_DEP_2) | instskip(SKIP_1) | instid1(VALU_DEP_2)
	v_ashrrev_i32_e32 v39, 31, v38
	s_wait_kmcnt 0x0
	v_mul_u64_e32 v[12:13], s[4:5], v[12:13]
	s_delay_alu instid0(VALU_DEP_2) | instskip(NEXT) | instid1(VALU_DEP_2)
	v_mul_u64_e32 v[38:39], s[4:5], v[38:39]
	v_lshl_add_u64 v[12:13], v[12:13], 4, v[34:35]
	s_delay_alu instid0(VALU_DEP_2)
	v_lshl_add_u64 v[38:39], v[38:39], 4, v[34:35]
	s_clause 0x1
	global_load_b128 v[12:15], v[12:13], off
	global_load_b128 v[44:47], v[38:39], off
	s_wait_xcnt 0x0
	v_dual_mov_b32 v38, v17 :: v_dual_ashrrev_i32 v39, 31, v17
	v_ashrrev_i32_e32 v17, 31, v16
	s_delay_alu instid0(VALU_DEP_2) | instskip(NEXT) | instid1(VALU_DEP_2)
	v_mul_u64_e32 v[38:39], s[4:5], v[38:39]
	v_mul_u64_e32 v[16:17], s[4:5], v[16:17]
	s_delay_alu instid0(VALU_DEP_2) | instskip(NEXT) | instid1(VALU_DEP_2)
	v_lshl_add_u64 v[38:39], v[38:39], 4, v[34:35]
	v_lshl_add_u64 v[16:17], v[16:17], 4, v[34:35]
	s_clause 0x1
	global_load_b128 v[48:51], v[38:39], off
	global_load_b128 v[52:55], v[16:17], off
	ds_load_b128 v[56:59], v10
	ds_load_b128 v[60:63], v10 offset:16
	s_wait_loadcnt_dscnt 0x301
	v_fmac_f64_e32 v[32:33], v[56:57], v[12:13]
	v_fmac_f64_e32 v[30:31], v[58:59], v[12:13]
	s_delay_alu instid0(VALU_DEP_2) | instskip(NEXT) | instid1(VALU_DEP_2)
	v_fma_f64 v[12:13], -v[58:59], v[14:15], v[32:33]
	v_fmac_f64_e32 v[30:31], v[56:57], v[14:15]
	s_wait_loadcnt_dscnt 0x200
	s_delay_alu instid0(VALU_DEP_2) | instskip(NEXT) | instid1(VALU_DEP_2)
	v_fmac_f64_e32 v[12:13], v[60:61], v[44:45]
	v_fmac_f64_e32 v[30:31], v[62:63], v[44:45]
	s_wait_xcnt 0x0
	s_delay_alu instid0(VALU_DEP_2) | instskip(NEXT) | instid1(VALU_DEP_2)
	v_fma_f64 v[16:17], -v[62:63], v[46:47], v[12:13]
	v_fmac_f64_e32 v[30:31], v[60:61], v[46:47]
	ds_load_b128 v[12:15], v10 offset:48
	ds_load_b128 v[44:47], v10 offset:64
	v_add_nc_u32_e32 v10, 0x60, v10
	s_wait_loadcnt_dscnt 0x101
	v_fmac_f64_e32 v[16:17], v[12:13], v[48:49]
	v_fmac_f64_e32 v[30:31], v[14:15], v[48:49]
	s_delay_alu instid0(VALU_DEP_2) | instskip(NEXT) | instid1(VALU_DEP_2)
	v_fma_f64 v[14:15], -v[14:15], v[50:51], v[16:17]
	v_fmac_f64_e32 v[30:31], v[12:13], v[50:51]
	s_wait_loadcnt_dscnt 0x0
	s_delay_alu instid0(VALU_DEP_2) | instskip(NEXT) | instid1(VALU_DEP_2)
	v_fmac_f64_e32 v[14:15], v[44:45], v[52:53]
	v_fmac_f64_e32 v[30:31], v[46:47], v[52:53]
	s_delay_alu instid0(VALU_DEP_2) | instskip(NEXT) | instid1(VALU_DEP_2)
	v_fma_f64 v[32:33], -v[46:47], v[54:55], v[14:15]
	v_fmac_f64_e32 v[30:31], v[44:45], v[54:55]
	s_cbranch_scc1 .LBB62_14
	s_branch .LBB62_9
.LBB62_15:                              ;   in Loop: Header=BB62_7 Depth=1
	s_or_b32 exec_lo, exec_lo, s19
.LBB62_16:                              ;   in Loop: Header=BB62_7 Depth=1
	s_delay_alu instid0(SALU_CYCLE_1) | instskip(NEXT) | instid1(SALU_CYCLE_1)
	s_or_b32 exec_lo, exec_lo, s13
	s_mov_b32 s1, exec_lo
	v_cmpx_gt_i32_e64 s22, v28
	s_cbranch_execz .LBB62_6
; %bb.17:                               ;   in Loop: Header=BB62_7 Depth=1
	s_and_saveexec_b32 s13, s18
	s_delay_alu instid0(SALU_CYCLE_1)
	s_xor_b32 s13, exec_lo, s13
	s_cbranch_execz .LBB62_22
; %bb.18:                               ;   in Loop: Header=BB62_7 Depth=1
	s_and_b32 vcc_lo, exec_lo, s16
	s_mov_b32 s19, -1
	s_cbranch_vccz .LBB62_20
; %bb.19:                               ;   in Loop: Header=BB62_7 Depth=1
	v_lshl_add_u64 v[34:35], v[28:29], 4, v[20:21]
	v_mul_f64_e64 v[14:15], v[30:31], -v[4:5]
	v_mul_f64_e32 v[16:17], v[2:3], v[30:31]
	s_mov_b32 s19, 0
	global_load_b128 v[10:13], v[34:35], off
	v_fmac_f64_e32 v[14:15], v[2:3], v[32:33]
	v_fmac_f64_e32 v[16:17], v[4:5], v[32:33]
	s_wait_loadcnt 0x0
	s_delay_alu instid0(VALU_DEP_2) | instskip(NEXT) | instid1(VALU_DEP_2)
	v_fmac_f64_e32 v[14:15], v[6:7], v[10:11]
	v_fmac_f64_e32 v[16:17], v[8:9], v[10:11]
	s_delay_alu instid0(VALU_DEP_2) | instskip(NEXT) | instid1(VALU_DEP_2)
	v_fma_f64 v[14:15], -v[8:9], v[12:13], v[14:15]
	v_fmac_f64_e32 v[16:17], v[6:7], v[12:13]
	global_store_b128 v[34:35], v[14:17], off
.LBB62_20:                              ;   in Loop: Header=BB62_7 Depth=1
	s_and_not1_b32 vcc_lo, exec_lo, s19
	s_cbranch_vccnz .LBB62_22
; %bb.21:                               ;   in Loop: Header=BB62_7 Depth=1
	v_mul_u64_e32 v[10:11], s[14:15], v[28:29]
	s_wait_xcnt 0x0
	v_mul_f64_e64 v[14:15], v[30:31], -v[4:5]
	v_mul_f64_e32 v[16:17], v[2:3], v[30:31]
                                        ; implicit-def: $vgpr30_vgpr31
	s_delay_alu instid0(VALU_DEP_3) | instskip(NEXT) | instid1(VALU_DEP_3)
	v_lshl_add_u64 v[28:29], v[10:11], 4, v[18:19]
	v_fmac_f64_e32 v[14:15], v[2:3], v[32:33]
	s_delay_alu instid0(VALU_DEP_3) | instskip(SKIP_4) | instid1(VALU_DEP_2)
	v_fmac_f64_e32 v[16:17], v[4:5], v[32:33]
                                        ; implicit-def: $vgpr32_vgpr33
	global_load_b128 v[10:13], v[28:29], off
	s_wait_loadcnt 0x0
	v_fmac_f64_e32 v[14:15], v[6:7], v[10:11]
	v_fmac_f64_e32 v[16:17], v[8:9], v[10:11]
	v_fma_f64 v[14:15], -v[8:9], v[12:13], v[14:15]
	s_delay_alu instid0(VALU_DEP_2)
	v_fmac_f64_e32 v[16:17], v[6:7], v[12:13]
	global_store_b128 v[28:29], v[14:17], off
                                        ; implicit-def: $vgpr28
.LBB62_22:                              ;   in Loop: Header=BB62_7 Depth=1
	s_wait_xcnt 0x0
	s_and_not1_saveexec_b32 s13, s13
	s_cbranch_execz .LBB62_6
; %bb.23:                               ;   in Loop: Header=BB62_7 Depth=1
	v_mul_f64_e64 v[10:11], v[30:31], -v[4:5]
	v_mul_f64_e32 v[12:13], v[2:3], v[30:31]
	s_and_b32 vcc_lo, exec_lo, s16
	s_mov_b32 s13, -1
	s_delay_alu instid0(VALU_DEP_2) | instskip(NEXT) | instid1(VALU_DEP_2)
	v_fmac_f64_e32 v[10:11], v[2:3], v[32:33]
	v_fmac_f64_e32 v[12:13], v[4:5], v[32:33]
	s_cbranch_vccz .LBB62_25
; %bb.24:                               ;   in Loop: Header=BB62_7 Depth=1
	v_lshl_add_u64 v[14:15], v[28:29], 4, v[20:21]
	s_mov_b32 s13, 0
	global_store_b128 v[14:15], v[10:13], off
.LBB62_25:                              ;   in Loop: Header=BB62_7 Depth=1
	s_and_not1_b32 vcc_lo, exec_lo, s13
	s_cbranch_vccnz .LBB62_6
; %bb.26:                               ;   in Loop: Header=BB62_7 Depth=1
	s_wait_xcnt 0x0
	v_mul_u64_e32 v[14:15], s[14:15], v[28:29]
	s_delay_alu instid0(VALU_DEP_1)
	v_lshl_add_u64 v[14:15], v[14:15], 4, v[18:19]
	global_store_b128 v[14:15], v[10:13], off
	s_branch .LBB62_6
.LBB62_27:
	s_endpgm
	.section	.rodata,"a",@progbits
	.p2align	6, 0x0
	.amdhsa_kernel _ZN9rocsparseL29bsrmmnt_small_blockdim_kernelILj64ELj16ELj2Eli21rocsparse_complex_numIdES2_S2_S2_EEv20rocsparse_direction_T3_S4_llNS_24const_host_device_scalarIT7_EEPKT2_PKS4_PKT4_PKT5_llS7_PT6_ll16rocsparse_order_21rocsparse_index_base_b
		.amdhsa_group_segment_fixed_size 3328
		.amdhsa_private_segment_fixed_size 0
		.amdhsa_kernarg_size 408
		.amdhsa_user_sgpr_count 2
		.amdhsa_user_sgpr_dispatch_ptr 0
		.amdhsa_user_sgpr_queue_ptr 0
		.amdhsa_user_sgpr_kernarg_segment_ptr 1
		.amdhsa_user_sgpr_dispatch_id 0
		.amdhsa_user_sgpr_kernarg_preload_length 0
		.amdhsa_user_sgpr_kernarg_preload_offset 0
		.amdhsa_user_sgpr_private_segment_size 0
		.amdhsa_wavefront_size32 1
		.amdhsa_uses_dynamic_stack 0
		.amdhsa_enable_private_segment 0
		.amdhsa_system_sgpr_workgroup_id_x 1
		.amdhsa_system_sgpr_workgroup_id_y 0
		.amdhsa_system_sgpr_workgroup_id_z 0
		.amdhsa_system_sgpr_workgroup_info 0
		.amdhsa_system_vgpr_workitem_id 0
		.amdhsa_next_free_vgpr 64
		.amdhsa_next_free_sgpr 23
		.amdhsa_named_barrier_count 0
		.amdhsa_reserve_vcc 1
		.amdhsa_float_round_mode_32 0
		.amdhsa_float_round_mode_16_64 0
		.amdhsa_float_denorm_mode_32 3
		.amdhsa_float_denorm_mode_16_64 3
		.amdhsa_fp16_overflow 0
		.amdhsa_memory_ordered 1
		.amdhsa_forward_progress 1
		.amdhsa_inst_pref_size 13
		.amdhsa_round_robin_scheduling 0
		.amdhsa_exception_fp_ieee_invalid_op 0
		.amdhsa_exception_fp_denorm_src 0
		.amdhsa_exception_fp_ieee_div_zero 0
		.amdhsa_exception_fp_ieee_overflow 0
		.amdhsa_exception_fp_ieee_underflow 0
		.amdhsa_exception_fp_ieee_inexact 0
		.amdhsa_exception_int_div_zero 0
	.end_amdhsa_kernel
	.section	.text._ZN9rocsparseL29bsrmmnt_small_blockdim_kernelILj64ELj16ELj2Eli21rocsparse_complex_numIdES2_S2_S2_EEv20rocsparse_direction_T3_S4_llNS_24const_host_device_scalarIT7_EEPKT2_PKS4_PKT4_PKT5_llS7_PT6_ll16rocsparse_order_21rocsparse_index_base_b,"axG",@progbits,_ZN9rocsparseL29bsrmmnt_small_blockdim_kernelILj64ELj16ELj2Eli21rocsparse_complex_numIdES2_S2_S2_EEv20rocsparse_direction_T3_S4_llNS_24const_host_device_scalarIT7_EEPKT2_PKS4_PKT4_PKT5_llS7_PT6_ll16rocsparse_order_21rocsparse_index_base_b,comdat
.Lfunc_end62:
	.size	_ZN9rocsparseL29bsrmmnt_small_blockdim_kernelILj64ELj16ELj2Eli21rocsparse_complex_numIdES2_S2_S2_EEv20rocsparse_direction_T3_S4_llNS_24const_host_device_scalarIT7_EEPKT2_PKS4_PKT4_PKT5_llS7_PT6_ll16rocsparse_order_21rocsparse_index_base_b, .Lfunc_end62-_ZN9rocsparseL29bsrmmnt_small_blockdim_kernelILj64ELj16ELj2Eli21rocsparse_complex_numIdES2_S2_S2_EEv20rocsparse_direction_T3_S4_llNS_24const_host_device_scalarIT7_EEPKT2_PKS4_PKT4_PKT5_llS7_PT6_ll16rocsparse_order_21rocsparse_index_base_b
                                        ; -- End function
	.set _ZN9rocsparseL29bsrmmnt_small_blockdim_kernelILj64ELj16ELj2Eli21rocsparse_complex_numIdES2_S2_S2_EEv20rocsparse_direction_T3_S4_llNS_24const_host_device_scalarIT7_EEPKT2_PKS4_PKT4_PKT5_llS7_PT6_ll16rocsparse_order_21rocsparse_index_base_b.num_vgpr, 64
	.set _ZN9rocsparseL29bsrmmnt_small_blockdim_kernelILj64ELj16ELj2Eli21rocsparse_complex_numIdES2_S2_S2_EEv20rocsparse_direction_T3_S4_llNS_24const_host_device_scalarIT7_EEPKT2_PKS4_PKT4_PKT5_llS7_PT6_ll16rocsparse_order_21rocsparse_index_base_b.num_agpr, 0
	.set _ZN9rocsparseL29bsrmmnt_small_blockdim_kernelILj64ELj16ELj2Eli21rocsparse_complex_numIdES2_S2_S2_EEv20rocsparse_direction_T3_S4_llNS_24const_host_device_scalarIT7_EEPKT2_PKS4_PKT4_PKT5_llS7_PT6_ll16rocsparse_order_21rocsparse_index_base_b.numbered_sgpr, 23
	.set _ZN9rocsparseL29bsrmmnt_small_blockdim_kernelILj64ELj16ELj2Eli21rocsparse_complex_numIdES2_S2_S2_EEv20rocsparse_direction_T3_S4_llNS_24const_host_device_scalarIT7_EEPKT2_PKS4_PKT4_PKT5_llS7_PT6_ll16rocsparse_order_21rocsparse_index_base_b.num_named_barrier, 0
	.set _ZN9rocsparseL29bsrmmnt_small_blockdim_kernelILj64ELj16ELj2Eli21rocsparse_complex_numIdES2_S2_S2_EEv20rocsparse_direction_T3_S4_llNS_24const_host_device_scalarIT7_EEPKT2_PKS4_PKT4_PKT5_llS7_PT6_ll16rocsparse_order_21rocsparse_index_base_b.private_seg_size, 0
	.set _ZN9rocsparseL29bsrmmnt_small_blockdim_kernelILj64ELj16ELj2Eli21rocsparse_complex_numIdES2_S2_S2_EEv20rocsparse_direction_T3_S4_llNS_24const_host_device_scalarIT7_EEPKT2_PKS4_PKT4_PKT5_llS7_PT6_ll16rocsparse_order_21rocsparse_index_base_b.uses_vcc, 1
	.set _ZN9rocsparseL29bsrmmnt_small_blockdim_kernelILj64ELj16ELj2Eli21rocsparse_complex_numIdES2_S2_S2_EEv20rocsparse_direction_T3_S4_llNS_24const_host_device_scalarIT7_EEPKT2_PKS4_PKT4_PKT5_llS7_PT6_ll16rocsparse_order_21rocsparse_index_base_b.uses_flat_scratch, 0
	.set _ZN9rocsparseL29bsrmmnt_small_blockdim_kernelILj64ELj16ELj2Eli21rocsparse_complex_numIdES2_S2_S2_EEv20rocsparse_direction_T3_S4_llNS_24const_host_device_scalarIT7_EEPKT2_PKS4_PKT4_PKT5_llS7_PT6_ll16rocsparse_order_21rocsparse_index_base_b.has_dyn_sized_stack, 0
	.set _ZN9rocsparseL29bsrmmnt_small_blockdim_kernelILj64ELj16ELj2Eli21rocsparse_complex_numIdES2_S2_S2_EEv20rocsparse_direction_T3_S4_llNS_24const_host_device_scalarIT7_EEPKT2_PKS4_PKT4_PKT5_llS7_PT6_ll16rocsparse_order_21rocsparse_index_base_b.has_recursion, 0
	.set _ZN9rocsparseL29bsrmmnt_small_blockdim_kernelILj64ELj16ELj2Eli21rocsparse_complex_numIdES2_S2_S2_EEv20rocsparse_direction_T3_S4_llNS_24const_host_device_scalarIT7_EEPKT2_PKS4_PKT4_PKT5_llS7_PT6_ll16rocsparse_order_21rocsparse_index_base_b.has_indirect_call, 0
	.section	.AMDGPU.csdata,"",@progbits
; Kernel info:
; codeLenInByte = 1652
; TotalNumSgprs: 25
; NumVgprs: 64
; ScratchSize: 0
; MemoryBound: 0
; FloatMode: 240
; IeeeMode: 1
; LDSByteSize: 3328 bytes/workgroup (compile time only)
; SGPRBlocks: 0
; VGPRBlocks: 3
; NumSGPRsForWavesPerEU: 25
; NumVGPRsForWavesPerEU: 64
; NamedBarCnt: 0
; Occupancy: 16
; WaveLimiterHint : 0
; COMPUTE_PGM_RSRC2:SCRATCH_EN: 0
; COMPUTE_PGM_RSRC2:USER_SGPR: 2
; COMPUTE_PGM_RSRC2:TRAP_HANDLER: 0
; COMPUTE_PGM_RSRC2:TGID_X_EN: 1
; COMPUTE_PGM_RSRC2:TGID_Y_EN: 0
; COMPUTE_PGM_RSRC2:TGID_Z_EN: 0
; COMPUTE_PGM_RSRC2:TIDIG_COMP_CNT: 0
	.section	.text._ZN9rocsparseL29bsrmmnt_small_blockdim_kernelILj64ELj32ELj2Eli21rocsparse_complex_numIdES2_S2_S2_EEv20rocsparse_direction_T3_S4_llNS_24const_host_device_scalarIT7_EEPKT2_PKS4_PKT4_PKT5_llS7_PT6_ll16rocsparse_order_21rocsparse_index_base_b,"axG",@progbits,_ZN9rocsparseL29bsrmmnt_small_blockdim_kernelILj64ELj32ELj2Eli21rocsparse_complex_numIdES2_S2_S2_EEv20rocsparse_direction_T3_S4_llNS_24const_host_device_scalarIT7_EEPKT2_PKS4_PKT4_PKT5_llS7_PT6_ll16rocsparse_order_21rocsparse_index_base_b,comdat
	.globl	_ZN9rocsparseL29bsrmmnt_small_blockdim_kernelILj64ELj32ELj2Eli21rocsparse_complex_numIdES2_S2_S2_EEv20rocsparse_direction_T3_S4_llNS_24const_host_device_scalarIT7_EEPKT2_PKS4_PKT4_PKT5_llS7_PT6_ll16rocsparse_order_21rocsparse_index_base_b ; -- Begin function _ZN9rocsparseL29bsrmmnt_small_blockdim_kernelILj64ELj32ELj2Eli21rocsparse_complex_numIdES2_S2_S2_EEv20rocsparse_direction_T3_S4_llNS_24const_host_device_scalarIT7_EEPKT2_PKS4_PKT4_PKT5_llS7_PT6_ll16rocsparse_order_21rocsparse_index_base_b
	.p2align	8
	.type	_ZN9rocsparseL29bsrmmnt_small_blockdim_kernelILj64ELj32ELj2Eli21rocsparse_complex_numIdES2_S2_S2_EEv20rocsparse_direction_T3_S4_llNS_24const_host_device_scalarIT7_EEPKT2_PKS4_PKT4_PKT5_llS7_PT6_ll16rocsparse_order_21rocsparse_index_base_b,@function
_ZN9rocsparseL29bsrmmnt_small_blockdim_kernelILj64ELj32ELj2Eli21rocsparse_complex_numIdES2_S2_S2_EEv20rocsparse_direction_T3_S4_llNS_24const_host_device_scalarIT7_EEPKT2_PKS4_PKT4_PKT5_llS7_PT6_ll16rocsparse_order_21rocsparse_index_base_b: ; @_ZN9rocsparseL29bsrmmnt_small_blockdim_kernelILj64ELj32ELj2Eli21rocsparse_complex_numIdES2_S2_S2_EEv20rocsparse_direction_T3_S4_llNS_24const_host_device_scalarIT7_EEPKT2_PKS4_PKT4_PKT5_llS7_PT6_ll16rocsparse_order_21rocsparse_index_base_b
; %bb.0:
	s_clause 0x1
	s_load_b96 s[16:18], s[0:1], 0x88
	s_load_b64 s[2:3], s[0:1], 0x20
	v_mov_b32_e32 v1, 0
	s_add_nc_u64 s[4:5], s[0:1], 32
	s_load_b64 s[6:7], s[0:1], 0x60
	s_wait_kmcnt 0x0
	s_bitcmp1_b32 s18, 0
	s_cselect_b32 s3, s5, s3
	s_cselect_b32 s2, s4, s2
	flat_load_b128 v[2:5], v1, s[2:3]
	s_wait_xcnt 0x0
	s_add_nc_u64 s[2:3], s[0:1], 0x60
	s_delay_alu instid0(SALU_CYCLE_1)
	s_cselect_b32 s3, s3, s7
	s_cselect_b32 s2, s2, s6
	flat_load_b128 v[6:9], v1, s[2:3]
	s_wait_loadcnt_dscnt 0x101
	v_cmp_eq_f64_e32 vcc_lo, 0, v[2:3]
	s_wait_xcnt 0x0
	v_cmp_eq_f64_e64 s2, 0, v[4:5]
	s_and_b32 s4, vcc_lo, s2
	s_mov_b32 s2, -1
	s_and_saveexec_b32 s3, s4
	s_cbranch_execz .LBB63_2
; %bb.1:
	s_wait_loadcnt_dscnt 0x0
	v_cmp_neq_f64_e32 vcc_lo, 1.0, v[6:7]
	v_cmp_neq_f64_e64 s2, 0, v[8:9]
	s_or_b32 s2, vcc_lo, s2
	s_delay_alu instid0(SALU_CYCLE_1)
	s_or_not1_b32 s2, s2, exec_lo
.LBB63_2:
	s_or_b32 exec_lo, exec_lo, s3
	s_and_saveexec_b32 s3, s2
	s_cbranch_execz .LBB63_27
; %bb.3:
	s_clause 0x1
	s_load_b32 s2, s[0:1], 0xa4
	s_load_b96 s[20:22], s[0:1], 0x0
	s_bfe_u32 s3, ttmp6, 0x4000c
	s_and_b32 s4, ttmp6, 15
	s_add_co_i32 s3, s3, 1
	s_getreg_b32 s5, hwreg(HW_REG_IB_STS2, 6, 4)
	s_mul_i32 s3, ttmp9, s3
	s_delay_alu instid0(SALU_CYCLE_1) | instskip(SKIP_4) | instid1(SALU_CYCLE_1)
	s_add_co_i32 s4, s4, s3
	s_wait_kmcnt 0x0
	s_and_b32 s2, s2, 0xffff
	s_cmp_eq_u32 s5, 0
	s_cselect_b32 s3, ttmp9, s4
	v_mad_u32 v10, s3, s2, v0
	s_delay_alu instid0(VALU_DEP_1) | instskip(NEXT) | instid1(VALU_DEP_1)
	v_lshrrev_b32_e32 v1, 6, v10
	v_cmp_gt_i32_e32 vcc_lo, s21, v1
	s_and_b32 exec_lo, exec_lo, vcc_lo
	s_cbranch_execz .LBB63_27
; %bb.4:
	s_cmp_lt_i32 s22, 1
	s_cbranch_scc1 .LBB63_27
; %bb.5:
	s_load_b256 s[4:11], s[0:1], 0x30
	v_dual_lshlrev_b32 v1, 3, v1 :: v_dual_lshrrev_b32 v16, 5, v10
	s_wait_loadcnt_dscnt 0x0
	v_cmp_neq_f64_e32 vcc_lo, 0, v[6:7]
	v_cmp_neq_f64_e64 s2, 0, v[8:9]
	s_load_b128 s[12:15], s[0:1], 0x70
	v_bfe_u32 v10, v10, 5, 1
	s_mov_b32 s3, 0
	v_dual_lshrrev_b32 v11, 5, v0 :: v_dual_bitop2_b32 v0, 31, v0 bitop3:0x40
	s_delay_alu instid0(VALU_DEP_1) | instskip(SKIP_1) | instid1(VALU_DEP_3)
	v_lshl_or_b32 v40, v11, 7, 0xc00
	v_mul_u32_u24_e32 v41, 0x600, v11
	v_mul_u32_u24_e32 v28, 48, v0
	s_delay_alu instid0(VALU_DEP_3)
	v_lshl_or_b32 v42, v0, 2, v40
	s_wait_kmcnt 0x0
	global_load_b128 v[12:15], v1, s[4:5]
	s_wait_xcnt 0x0
	v_mov_b32_e32 v1, 0
	s_load_b64 s[4:5], s[0:1], 0x50
	v_add_nc_u32_e32 v43, v41, v28
	s_delay_alu instid0(VALU_DEP_2) | instskip(NEXT) | instid1(VALU_DEP_1)
	v_dual_mov_b32 v17, v1 :: v_dual_mov_b32 v11, v1
	v_mul_u64_e32 v[20:21], s[14:15], v[16:17]
	s_or_b32 s18, vcc_lo, s2
	s_cmp_lg_u32 s16, 1
	s_mov_b32 s2, s17
	s_cselect_b32 s16, -1, 0
	s_cmp_eq_u32 s20, 0
	s_wait_xcnt 0x0
	s_cselect_b32 s1, -1, 0
	s_delay_alu instid0(SALU_CYCLE_1) | instskip(SKIP_1) | instid1(VALU_DEP_1)
	v_cndmask_b32_e64 v17, 0, 1, s1
	s_and_b32 s1, s1, exec_lo
	v_dual_lshlrev_b32 v18, v17, v10 :: v_dual_lshlrev_b32 v10, 4, v16
	s_delay_alu instid0(VALU_DEP_1) | instskip(NEXT) | instid1(VALU_DEP_2)
	v_dual_mov_b32 v17, v1 :: v_dual_lshlrev_b32 v16, 4, v18
	v_add_nc_u64_e32 v[18:19], s[12:13], v[10:11]
	s_delay_alu instid0(VALU_DEP_2)
	v_add_nc_u64_e32 v[22:23], s[8:9], v[16:17]
	s_cselect_b32 s8, 24, 40
	s_mov_b32 s9, s3
	v_lshl_add_u64 v[20:21], v[20:21], 4, s[12:13]
	s_mov_b32 s12, s3
	s_wait_loadcnt 0x0
	v_sub_nc_u64_e64 v[24:25], v[12:13], s[2:3]
	v_sub_nc_u64_e64 v[26:27], v[14:15], s[2:3]
	v_cmp_lt_i64_e64 s0, v[12:13], v[14:15]
	s_cselect_b32 s2, 16, 32
	s_branch .LBB63_7
.LBB63_6:                               ;   in Loop: Header=BB63_7 Depth=1
	s_wait_xcnt 0x0
	s_or_b32 exec_lo, exec_lo, s1
	s_add_co_i32 s12, s12, 32
	s_delay_alu instid0(SALU_CYCLE_1)
	s_cmp_lt_i32 s12, s22
	s_cbranch_scc0 .LBB63_27
.LBB63_7:                               ; =>This Loop Header: Depth=1
                                        ;     Child Loop BB63_10 Depth 2
                                        ;       Child Loop BB63_14 Depth 3
	v_or_b32_e32 v28, s12, v0
	v_mov_b64_e32 v[30:31], 0
	v_mov_b64_e32 v[32:33], 0
	s_delay_alu instid0(VALU_DEP_3)
	v_ashrrev_i32_e32 v29, 31, v28
	s_and_saveexec_b32 s13, s0
	s_cbranch_execz .LBB63_16
; %bb.8:                                ;   in Loop: Header=BB63_7 Depth=1
	v_mov_b64_e32 v[30:31], 0
	v_mov_b64_e32 v[32:33], 0
	;; [unrolled: 1-line block ×3, first 2 shown]
	v_lshl_add_u64 v[34:35], v[28:29], 4, s[10:11]
	s_mov_b32 s19, 0
	v_cmp_gt_i32_e32 vcc_lo, s22, v28
	s_branch .LBB63_10
.LBB63_9:                               ;   in Loop: Header=BB63_10 Depth=2
	s_or_b32 exec_lo, exec_lo, s1
	v_add_nc_u64_e32 v[36:37], 32, v[36:37]
	s_delay_alu instid0(VALU_DEP_1) | instskip(SKIP_1) | instid1(SALU_CYCLE_1)
	v_cmp_ge_i64_e64 s1, v[36:37], v[26:27]
	s_or_b32 s19, s1, s19
	s_and_not1_b32 exec_lo, exec_lo, s19
	s_cbranch_execz .LBB63_15
.LBB63_10:                              ;   Parent Loop BB63_7 Depth=1
                                        ; =>  This Loop Header: Depth=2
                                        ;       Child Loop BB63_14 Depth 3
	s_delay_alu instid0(VALU_DEP_3)
	v_add_nc_u64_e32 v[38:39], v[36:37], v[0:1]
	v_mov_b64_e32 v[14:15], 0
	v_mov_b64_e32 v[16:17], 0
	;; [unrolled: 1-line block ×4, first 2 shown]
	v_mov_b32_e32 v44, 0
	s_mov_b32 s20, exec_lo
	v_cmpx_lt_i64_e64 v[38:39], v[26:27]
	s_cbranch_execz .LBB63_12
; %bb.11:                               ;   in Loop: Header=BB63_10 Depth=2
	v_lshlrev_b64_e32 v[10:11], 6, v[38:39]
	v_lshl_add_u64 v[12:13], v[38:39], 2, s[6:7]
	global_load_b32 v48, v[12:13], off
	v_add_nc_u64_e32 v[38:39], v[22:23], v[10:11]
	s_delay_alu instid0(VALU_DEP_1)
	v_add_nc_u64_e32 v[44:45], s[2:3], v[38:39]
	v_add_nc_u64_e32 v[46:47], s[8:9], v[38:39]
	s_clause 0x2
	global_load_b128 v[14:17], v[38:39], off
	global_load_b64 v[10:11], v[44:45], off
	global_load_b64 v[12:13], v[46:47], off
	s_wait_loadcnt 0x3
	s_wait_xcnt 0x2
	v_subrev_nc_u32_e32 v38, s17, v48
	s_wait_xcnt 0x1
	s_delay_alu instid0(VALU_DEP_1)
	v_lshlrev_b32_e32 v44, 1, v38
.LBB63_12:                              ;   in Loop: Header=BB63_10 Depth=2
	s_wait_xcnt 0x0
	s_or_b32 exec_lo, exec_lo, s20
	ds_store_b32 v42, v44
	s_wait_loadcnt 0x2
	ds_store_b128 v43, v[14:17]
	s_wait_loadcnt 0x0
	ds_store_b128 v43, v[10:13] offset:16
	s_wait_dscnt 0x0
	s_barrier_signal -1
	s_barrier_wait -1
	s_and_saveexec_b32 s1, vcc_lo
	s_cbranch_execz .LBB63_9
; %bb.13:                               ;   in Loop: Header=BB63_10 Depth=2
	v_mov_b32_e32 v10, v41
	s_mov_b32 s20, 0
.LBB63_14:                              ;   Parent Loop BB63_7 Depth=1
                                        ;     Parent Loop BB63_10 Depth=2
                                        ; =>    This Inner Loop Header: Depth=3
	s_delay_alu instid0(SALU_CYCLE_1) | instskip(SKIP_1) | instid1(SALU_CYCLE_1)
	v_add_nc_u32_e32 v11, s20, v40
	s_add_co_i32 s20, s20, 8
	s_cmp_lg_u32 s20, 0x80
	ds_load_b64 v[16:17], v11
	s_wait_dscnt 0x0
	v_dual_ashrrev_i32 v13, 31, v16 :: v_dual_add_nc_u32 v38, 1, v16
	v_dual_mov_b32 v12, v16 :: v_dual_add_nc_u32 v16, 1, v17
	s_delay_alu instid0(VALU_DEP_2) | instskip(SKIP_1) | instid1(VALU_DEP_2)
	v_ashrrev_i32_e32 v39, 31, v38
	s_wait_kmcnt 0x0
	v_mul_u64_e32 v[12:13], s[4:5], v[12:13]
	s_delay_alu instid0(VALU_DEP_2) | instskip(NEXT) | instid1(VALU_DEP_2)
	v_mul_u64_e32 v[38:39], s[4:5], v[38:39]
	v_lshl_add_u64 v[12:13], v[12:13], 4, v[34:35]
	s_delay_alu instid0(VALU_DEP_2)
	v_lshl_add_u64 v[38:39], v[38:39], 4, v[34:35]
	s_clause 0x1
	global_load_b128 v[12:15], v[12:13], off
	global_load_b128 v[44:47], v[38:39], off
	s_wait_xcnt 0x0
	v_dual_mov_b32 v38, v17 :: v_dual_ashrrev_i32 v39, 31, v17
	v_ashrrev_i32_e32 v17, 31, v16
	s_delay_alu instid0(VALU_DEP_2) | instskip(NEXT) | instid1(VALU_DEP_2)
	v_mul_u64_e32 v[38:39], s[4:5], v[38:39]
	v_mul_u64_e32 v[16:17], s[4:5], v[16:17]
	s_delay_alu instid0(VALU_DEP_2) | instskip(NEXT) | instid1(VALU_DEP_2)
	v_lshl_add_u64 v[38:39], v[38:39], 4, v[34:35]
	v_lshl_add_u64 v[16:17], v[16:17], 4, v[34:35]
	s_clause 0x1
	global_load_b128 v[48:51], v[38:39], off
	global_load_b128 v[52:55], v[16:17], off
	ds_load_b128 v[56:59], v10
	ds_load_b128 v[60:63], v10 offset:16
	s_wait_loadcnt_dscnt 0x301
	v_fmac_f64_e32 v[32:33], v[56:57], v[12:13]
	v_fmac_f64_e32 v[30:31], v[58:59], v[12:13]
	s_delay_alu instid0(VALU_DEP_2) | instskip(NEXT) | instid1(VALU_DEP_2)
	v_fma_f64 v[12:13], -v[58:59], v[14:15], v[32:33]
	v_fmac_f64_e32 v[30:31], v[56:57], v[14:15]
	s_wait_loadcnt_dscnt 0x200
	s_delay_alu instid0(VALU_DEP_2) | instskip(NEXT) | instid1(VALU_DEP_2)
	v_fmac_f64_e32 v[12:13], v[60:61], v[44:45]
	v_fmac_f64_e32 v[30:31], v[62:63], v[44:45]
	s_wait_xcnt 0x0
	s_delay_alu instid0(VALU_DEP_2) | instskip(NEXT) | instid1(VALU_DEP_2)
	v_fma_f64 v[16:17], -v[62:63], v[46:47], v[12:13]
	v_fmac_f64_e32 v[30:31], v[60:61], v[46:47]
	ds_load_b128 v[12:15], v10 offset:48
	ds_load_b128 v[44:47], v10 offset:64
	v_add_nc_u32_e32 v10, 0x60, v10
	s_wait_loadcnt_dscnt 0x101
	v_fmac_f64_e32 v[16:17], v[12:13], v[48:49]
	v_fmac_f64_e32 v[30:31], v[14:15], v[48:49]
	s_delay_alu instid0(VALU_DEP_2) | instskip(NEXT) | instid1(VALU_DEP_2)
	v_fma_f64 v[14:15], -v[14:15], v[50:51], v[16:17]
	v_fmac_f64_e32 v[30:31], v[12:13], v[50:51]
	s_wait_loadcnt_dscnt 0x0
	s_delay_alu instid0(VALU_DEP_2) | instskip(NEXT) | instid1(VALU_DEP_2)
	v_fmac_f64_e32 v[14:15], v[44:45], v[52:53]
	v_fmac_f64_e32 v[30:31], v[46:47], v[52:53]
	s_delay_alu instid0(VALU_DEP_2) | instskip(NEXT) | instid1(VALU_DEP_2)
	v_fma_f64 v[32:33], -v[46:47], v[54:55], v[14:15]
	v_fmac_f64_e32 v[30:31], v[44:45], v[54:55]
	s_cbranch_scc1 .LBB63_14
	s_branch .LBB63_9
.LBB63_15:                              ;   in Loop: Header=BB63_7 Depth=1
	s_or_b32 exec_lo, exec_lo, s19
.LBB63_16:                              ;   in Loop: Header=BB63_7 Depth=1
	s_delay_alu instid0(SALU_CYCLE_1) | instskip(NEXT) | instid1(SALU_CYCLE_1)
	s_or_b32 exec_lo, exec_lo, s13
	s_mov_b32 s1, exec_lo
	v_cmpx_gt_i32_e64 s22, v28
	s_cbranch_execz .LBB63_6
; %bb.17:                               ;   in Loop: Header=BB63_7 Depth=1
	s_and_saveexec_b32 s13, s18
	s_delay_alu instid0(SALU_CYCLE_1)
	s_xor_b32 s13, exec_lo, s13
	s_cbranch_execz .LBB63_22
; %bb.18:                               ;   in Loop: Header=BB63_7 Depth=1
	s_and_b32 vcc_lo, exec_lo, s16
	s_mov_b32 s19, -1
	s_cbranch_vccz .LBB63_20
; %bb.19:                               ;   in Loop: Header=BB63_7 Depth=1
	v_lshl_add_u64 v[34:35], v[28:29], 4, v[20:21]
	v_mul_f64_e64 v[14:15], v[30:31], -v[4:5]
	v_mul_f64_e32 v[16:17], v[2:3], v[30:31]
	s_mov_b32 s19, 0
	global_load_b128 v[10:13], v[34:35], off
	v_fmac_f64_e32 v[14:15], v[2:3], v[32:33]
	v_fmac_f64_e32 v[16:17], v[4:5], v[32:33]
	s_wait_loadcnt 0x0
	s_delay_alu instid0(VALU_DEP_2) | instskip(NEXT) | instid1(VALU_DEP_2)
	v_fmac_f64_e32 v[14:15], v[6:7], v[10:11]
	v_fmac_f64_e32 v[16:17], v[8:9], v[10:11]
	s_delay_alu instid0(VALU_DEP_2) | instskip(NEXT) | instid1(VALU_DEP_2)
	v_fma_f64 v[14:15], -v[8:9], v[12:13], v[14:15]
	v_fmac_f64_e32 v[16:17], v[6:7], v[12:13]
	global_store_b128 v[34:35], v[14:17], off
.LBB63_20:                              ;   in Loop: Header=BB63_7 Depth=1
	s_and_not1_b32 vcc_lo, exec_lo, s19
	s_cbranch_vccnz .LBB63_22
; %bb.21:                               ;   in Loop: Header=BB63_7 Depth=1
	v_mul_u64_e32 v[10:11], s[14:15], v[28:29]
	s_wait_xcnt 0x0
	v_mul_f64_e64 v[14:15], v[30:31], -v[4:5]
	v_mul_f64_e32 v[16:17], v[2:3], v[30:31]
                                        ; implicit-def: $vgpr30_vgpr31
	s_delay_alu instid0(VALU_DEP_3) | instskip(NEXT) | instid1(VALU_DEP_3)
	v_lshl_add_u64 v[28:29], v[10:11], 4, v[18:19]
	v_fmac_f64_e32 v[14:15], v[2:3], v[32:33]
	s_delay_alu instid0(VALU_DEP_3) | instskip(SKIP_4) | instid1(VALU_DEP_2)
	v_fmac_f64_e32 v[16:17], v[4:5], v[32:33]
                                        ; implicit-def: $vgpr32_vgpr33
	global_load_b128 v[10:13], v[28:29], off
	s_wait_loadcnt 0x0
	v_fmac_f64_e32 v[14:15], v[6:7], v[10:11]
	v_fmac_f64_e32 v[16:17], v[8:9], v[10:11]
	v_fma_f64 v[14:15], -v[8:9], v[12:13], v[14:15]
	s_delay_alu instid0(VALU_DEP_2)
	v_fmac_f64_e32 v[16:17], v[6:7], v[12:13]
	global_store_b128 v[28:29], v[14:17], off
                                        ; implicit-def: $vgpr28
.LBB63_22:                              ;   in Loop: Header=BB63_7 Depth=1
	s_wait_xcnt 0x0
	s_and_not1_saveexec_b32 s13, s13
	s_cbranch_execz .LBB63_6
; %bb.23:                               ;   in Loop: Header=BB63_7 Depth=1
	v_mul_f64_e64 v[10:11], v[30:31], -v[4:5]
	v_mul_f64_e32 v[12:13], v[2:3], v[30:31]
	s_and_b32 vcc_lo, exec_lo, s16
	s_mov_b32 s13, -1
	s_delay_alu instid0(VALU_DEP_2) | instskip(NEXT) | instid1(VALU_DEP_2)
	v_fmac_f64_e32 v[10:11], v[2:3], v[32:33]
	v_fmac_f64_e32 v[12:13], v[4:5], v[32:33]
	s_cbranch_vccz .LBB63_25
; %bb.24:                               ;   in Loop: Header=BB63_7 Depth=1
	v_lshl_add_u64 v[14:15], v[28:29], 4, v[20:21]
	s_mov_b32 s13, 0
	global_store_b128 v[14:15], v[10:13], off
.LBB63_25:                              ;   in Loop: Header=BB63_7 Depth=1
	s_and_not1_b32 vcc_lo, exec_lo, s13
	s_cbranch_vccnz .LBB63_6
; %bb.26:                               ;   in Loop: Header=BB63_7 Depth=1
	s_wait_xcnt 0x0
	v_mul_u64_e32 v[14:15], s[14:15], v[28:29]
	s_delay_alu instid0(VALU_DEP_1)
	v_lshl_add_u64 v[14:15], v[14:15], 4, v[18:19]
	global_store_b128 v[14:15], v[10:13], off
	s_branch .LBB63_6
.LBB63_27:
	s_endpgm
	.section	.rodata,"a",@progbits
	.p2align	6, 0x0
	.amdhsa_kernel _ZN9rocsparseL29bsrmmnt_small_blockdim_kernelILj64ELj32ELj2Eli21rocsparse_complex_numIdES2_S2_S2_EEv20rocsparse_direction_T3_S4_llNS_24const_host_device_scalarIT7_EEPKT2_PKS4_PKT4_PKT5_llS7_PT6_ll16rocsparse_order_21rocsparse_index_base_b
		.amdhsa_group_segment_fixed_size 3328
		.amdhsa_private_segment_fixed_size 0
		.amdhsa_kernarg_size 408
		.amdhsa_user_sgpr_count 2
		.amdhsa_user_sgpr_dispatch_ptr 0
		.amdhsa_user_sgpr_queue_ptr 0
		.amdhsa_user_sgpr_kernarg_segment_ptr 1
		.amdhsa_user_sgpr_dispatch_id 0
		.amdhsa_user_sgpr_kernarg_preload_length 0
		.amdhsa_user_sgpr_kernarg_preload_offset 0
		.amdhsa_user_sgpr_private_segment_size 0
		.amdhsa_wavefront_size32 1
		.amdhsa_uses_dynamic_stack 0
		.amdhsa_enable_private_segment 0
		.amdhsa_system_sgpr_workgroup_id_x 1
		.amdhsa_system_sgpr_workgroup_id_y 0
		.amdhsa_system_sgpr_workgroup_id_z 0
		.amdhsa_system_sgpr_workgroup_info 0
		.amdhsa_system_vgpr_workitem_id 0
		.amdhsa_next_free_vgpr 64
		.amdhsa_next_free_sgpr 23
		.amdhsa_named_barrier_count 0
		.amdhsa_reserve_vcc 1
		.amdhsa_float_round_mode_32 0
		.amdhsa_float_round_mode_16_64 0
		.amdhsa_float_denorm_mode_32 3
		.amdhsa_float_denorm_mode_16_64 3
		.amdhsa_fp16_overflow 0
		.amdhsa_memory_ordered 1
		.amdhsa_forward_progress 1
		.amdhsa_inst_pref_size 13
		.amdhsa_round_robin_scheduling 0
		.amdhsa_exception_fp_ieee_invalid_op 0
		.amdhsa_exception_fp_denorm_src 0
		.amdhsa_exception_fp_ieee_div_zero 0
		.amdhsa_exception_fp_ieee_overflow 0
		.amdhsa_exception_fp_ieee_underflow 0
		.amdhsa_exception_fp_ieee_inexact 0
		.amdhsa_exception_int_div_zero 0
	.end_amdhsa_kernel
	.section	.text._ZN9rocsparseL29bsrmmnt_small_blockdim_kernelILj64ELj32ELj2Eli21rocsparse_complex_numIdES2_S2_S2_EEv20rocsparse_direction_T3_S4_llNS_24const_host_device_scalarIT7_EEPKT2_PKS4_PKT4_PKT5_llS7_PT6_ll16rocsparse_order_21rocsparse_index_base_b,"axG",@progbits,_ZN9rocsparseL29bsrmmnt_small_blockdim_kernelILj64ELj32ELj2Eli21rocsparse_complex_numIdES2_S2_S2_EEv20rocsparse_direction_T3_S4_llNS_24const_host_device_scalarIT7_EEPKT2_PKS4_PKT4_PKT5_llS7_PT6_ll16rocsparse_order_21rocsparse_index_base_b,comdat
.Lfunc_end63:
	.size	_ZN9rocsparseL29bsrmmnt_small_blockdim_kernelILj64ELj32ELj2Eli21rocsparse_complex_numIdES2_S2_S2_EEv20rocsparse_direction_T3_S4_llNS_24const_host_device_scalarIT7_EEPKT2_PKS4_PKT4_PKT5_llS7_PT6_ll16rocsparse_order_21rocsparse_index_base_b, .Lfunc_end63-_ZN9rocsparseL29bsrmmnt_small_blockdim_kernelILj64ELj32ELj2Eli21rocsparse_complex_numIdES2_S2_S2_EEv20rocsparse_direction_T3_S4_llNS_24const_host_device_scalarIT7_EEPKT2_PKS4_PKT4_PKT5_llS7_PT6_ll16rocsparse_order_21rocsparse_index_base_b
                                        ; -- End function
	.set _ZN9rocsparseL29bsrmmnt_small_blockdim_kernelILj64ELj32ELj2Eli21rocsparse_complex_numIdES2_S2_S2_EEv20rocsparse_direction_T3_S4_llNS_24const_host_device_scalarIT7_EEPKT2_PKS4_PKT4_PKT5_llS7_PT6_ll16rocsparse_order_21rocsparse_index_base_b.num_vgpr, 64
	.set _ZN9rocsparseL29bsrmmnt_small_blockdim_kernelILj64ELj32ELj2Eli21rocsparse_complex_numIdES2_S2_S2_EEv20rocsparse_direction_T3_S4_llNS_24const_host_device_scalarIT7_EEPKT2_PKS4_PKT4_PKT5_llS7_PT6_ll16rocsparse_order_21rocsparse_index_base_b.num_agpr, 0
	.set _ZN9rocsparseL29bsrmmnt_small_blockdim_kernelILj64ELj32ELj2Eli21rocsparse_complex_numIdES2_S2_S2_EEv20rocsparse_direction_T3_S4_llNS_24const_host_device_scalarIT7_EEPKT2_PKS4_PKT4_PKT5_llS7_PT6_ll16rocsparse_order_21rocsparse_index_base_b.numbered_sgpr, 23
	.set _ZN9rocsparseL29bsrmmnt_small_blockdim_kernelILj64ELj32ELj2Eli21rocsparse_complex_numIdES2_S2_S2_EEv20rocsparse_direction_T3_S4_llNS_24const_host_device_scalarIT7_EEPKT2_PKS4_PKT4_PKT5_llS7_PT6_ll16rocsparse_order_21rocsparse_index_base_b.num_named_barrier, 0
	.set _ZN9rocsparseL29bsrmmnt_small_blockdim_kernelILj64ELj32ELj2Eli21rocsparse_complex_numIdES2_S2_S2_EEv20rocsparse_direction_T3_S4_llNS_24const_host_device_scalarIT7_EEPKT2_PKS4_PKT4_PKT5_llS7_PT6_ll16rocsparse_order_21rocsparse_index_base_b.private_seg_size, 0
	.set _ZN9rocsparseL29bsrmmnt_small_blockdim_kernelILj64ELj32ELj2Eli21rocsparse_complex_numIdES2_S2_S2_EEv20rocsparse_direction_T3_S4_llNS_24const_host_device_scalarIT7_EEPKT2_PKS4_PKT4_PKT5_llS7_PT6_ll16rocsparse_order_21rocsparse_index_base_b.uses_vcc, 1
	.set _ZN9rocsparseL29bsrmmnt_small_blockdim_kernelILj64ELj32ELj2Eli21rocsparse_complex_numIdES2_S2_S2_EEv20rocsparse_direction_T3_S4_llNS_24const_host_device_scalarIT7_EEPKT2_PKS4_PKT4_PKT5_llS7_PT6_ll16rocsparse_order_21rocsparse_index_base_b.uses_flat_scratch, 0
	.set _ZN9rocsparseL29bsrmmnt_small_blockdim_kernelILj64ELj32ELj2Eli21rocsparse_complex_numIdES2_S2_S2_EEv20rocsparse_direction_T3_S4_llNS_24const_host_device_scalarIT7_EEPKT2_PKS4_PKT4_PKT5_llS7_PT6_ll16rocsparse_order_21rocsparse_index_base_b.has_dyn_sized_stack, 0
	.set _ZN9rocsparseL29bsrmmnt_small_blockdim_kernelILj64ELj32ELj2Eli21rocsparse_complex_numIdES2_S2_S2_EEv20rocsparse_direction_T3_S4_llNS_24const_host_device_scalarIT7_EEPKT2_PKS4_PKT4_PKT5_llS7_PT6_ll16rocsparse_order_21rocsparse_index_base_b.has_recursion, 0
	.set _ZN9rocsparseL29bsrmmnt_small_blockdim_kernelILj64ELj32ELj2Eli21rocsparse_complex_numIdES2_S2_S2_EEv20rocsparse_direction_T3_S4_llNS_24const_host_device_scalarIT7_EEPKT2_PKS4_PKT4_PKT5_llS7_PT6_ll16rocsparse_order_21rocsparse_index_base_b.has_indirect_call, 0
	.section	.AMDGPU.csdata,"",@progbits
; Kernel info:
; codeLenInByte = 1660
; TotalNumSgprs: 25
; NumVgprs: 64
; ScratchSize: 0
; MemoryBound: 0
; FloatMode: 240
; IeeeMode: 1
; LDSByteSize: 3328 bytes/workgroup (compile time only)
; SGPRBlocks: 0
; VGPRBlocks: 3
; NumSGPRsForWavesPerEU: 25
; NumVGPRsForWavesPerEU: 64
; NamedBarCnt: 0
; Occupancy: 16
; WaveLimiterHint : 0
; COMPUTE_PGM_RSRC2:SCRATCH_EN: 0
; COMPUTE_PGM_RSRC2:USER_SGPR: 2
; COMPUTE_PGM_RSRC2:TRAP_HANDLER: 0
; COMPUTE_PGM_RSRC2:TGID_X_EN: 1
; COMPUTE_PGM_RSRC2:TGID_Y_EN: 0
; COMPUTE_PGM_RSRC2:TGID_Z_EN: 0
; COMPUTE_PGM_RSRC2:TIDIG_COMP_CNT: 0
	.section	.text._ZN9rocsparseL29bsrmmnt_small_blockdim_kernelILj64ELj64ELj2Eli21rocsparse_complex_numIdES2_S2_S2_EEv20rocsparse_direction_T3_S4_llNS_24const_host_device_scalarIT7_EEPKT2_PKS4_PKT4_PKT5_llS7_PT6_ll16rocsparse_order_21rocsparse_index_base_b,"axG",@progbits,_ZN9rocsparseL29bsrmmnt_small_blockdim_kernelILj64ELj64ELj2Eli21rocsparse_complex_numIdES2_S2_S2_EEv20rocsparse_direction_T3_S4_llNS_24const_host_device_scalarIT7_EEPKT2_PKS4_PKT4_PKT5_llS7_PT6_ll16rocsparse_order_21rocsparse_index_base_b,comdat
	.globl	_ZN9rocsparseL29bsrmmnt_small_blockdim_kernelILj64ELj64ELj2Eli21rocsparse_complex_numIdES2_S2_S2_EEv20rocsparse_direction_T3_S4_llNS_24const_host_device_scalarIT7_EEPKT2_PKS4_PKT4_PKT5_llS7_PT6_ll16rocsparse_order_21rocsparse_index_base_b ; -- Begin function _ZN9rocsparseL29bsrmmnt_small_blockdim_kernelILj64ELj64ELj2Eli21rocsparse_complex_numIdES2_S2_S2_EEv20rocsparse_direction_T3_S4_llNS_24const_host_device_scalarIT7_EEPKT2_PKS4_PKT4_PKT5_llS7_PT6_ll16rocsparse_order_21rocsparse_index_base_b
	.p2align	8
	.type	_ZN9rocsparseL29bsrmmnt_small_blockdim_kernelILj64ELj64ELj2Eli21rocsparse_complex_numIdES2_S2_S2_EEv20rocsparse_direction_T3_S4_llNS_24const_host_device_scalarIT7_EEPKT2_PKS4_PKT4_PKT5_llS7_PT6_ll16rocsparse_order_21rocsparse_index_base_b,@function
_ZN9rocsparseL29bsrmmnt_small_blockdim_kernelILj64ELj64ELj2Eli21rocsparse_complex_numIdES2_S2_S2_EEv20rocsparse_direction_T3_S4_llNS_24const_host_device_scalarIT7_EEPKT2_PKS4_PKT4_PKT5_llS7_PT6_ll16rocsparse_order_21rocsparse_index_base_b: ; @_ZN9rocsparseL29bsrmmnt_small_blockdim_kernelILj64ELj64ELj2Eli21rocsparse_complex_numIdES2_S2_S2_EEv20rocsparse_direction_T3_S4_llNS_24const_host_device_scalarIT7_EEPKT2_PKS4_PKT4_PKT5_llS7_PT6_ll16rocsparse_order_21rocsparse_index_base_b
; %bb.0:
	s_clause 0x1
	s_load_b96 s[16:18], s[0:1], 0x88
	s_load_b64 s[2:3], s[0:1], 0x20
	v_mov_b32_e32 v1, 0
	s_add_nc_u64 s[4:5], s[0:1], 32
	s_load_b64 s[6:7], s[0:1], 0x60
	s_wait_kmcnt 0x0
	s_bitcmp1_b32 s18, 0
	s_cselect_b32 s3, s5, s3
	s_cselect_b32 s2, s4, s2
	flat_load_b128 v[2:5], v1, s[2:3]
	s_wait_xcnt 0x0
	s_add_nc_u64 s[2:3], s[0:1], 0x60
	s_delay_alu instid0(SALU_CYCLE_1)
	s_cselect_b32 s3, s3, s7
	s_cselect_b32 s2, s2, s6
	flat_load_b128 v[6:9], v1, s[2:3]
	s_wait_loadcnt_dscnt 0x101
	v_cmp_eq_f64_e32 vcc_lo, 0, v[2:3]
	s_wait_xcnt 0x0
	v_cmp_eq_f64_e64 s2, 0, v[4:5]
	s_and_b32 s4, vcc_lo, s2
	s_mov_b32 s2, -1
	s_and_saveexec_b32 s3, s4
	s_cbranch_execz .LBB64_2
; %bb.1:
	s_wait_loadcnt_dscnt 0x0
	v_cmp_neq_f64_e32 vcc_lo, 1.0, v[6:7]
	v_cmp_neq_f64_e64 s2, 0, v[8:9]
	s_or_b32 s2, vcc_lo, s2
	s_delay_alu instid0(SALU_CYCLE_1)
	s_or_not1_b32 s2, s2, exec_lo
.LBB64_2:
	s_or_b32 exec_lo, exec_lo, s3
	s_and_saveexec_b32 s3, s2
	s_cbranch_execz .LBB64_27
; %bb.3:
	s_clause 0x1
	s_load_b32 s2, s[0:1], 0xa4
	s_load_b96 s[20:22], s[0:1], 0x0
	s_bfe_u32 s3, ttmp6, 0x4000c
	s_and_b32 s4, ttmp6, 15
	s_add_co_i32 s3, s3, 1
	s_getreg_b32 s5, hwreg(HW_REG_IB_STS2, 6, 4)
	s_mul_i32 s3, ttmp9, s3
	s_delay_alu instid0(SALU_CYCLE_1) | instskip(SKIP_4) | instid1(SALU_CYCLE_1)
	s_add_co_i32 s4, s4, s3
	s_wait_kmcnt 0x0
	s_and_b32 s2, s2, 0xffff
	s_cmp_eq_u32 s5, 0
	s_cselect_b32 s3, ttmp9, s4
	v_mad_u32 v10, s3, s2, v0
	s_delay_alu instid0(VALU_DEP_1) | instskip(NEXT) | instid1(VALU_DEP_1)
	v_lshrrev_b32_e32 v1, 7, v10
	v_cmp_gt_i32_e32 vcc_lo, s21, v1
	s_and_b32 exec_lo, exec_lo, vcc_lo
	s_cbranch_execz .LBB64_27
; %bb.4:
	s_cmp_lt_i32 s22, 1
	s_cbranch_scc1 .LBB64_27
; %bb.5:
	s_load_b256 s[4:11], s[0:1], 0x30
	v_dual_lshlrev_b32 v1, 3, v1 :: v_dual_lshrrev_b32 v16, 6, v10
	s_wait_loadcnt_dscnt 0x0
	v_cmp_neq_f64_e32 vcc_lo, 0, v[6:7]
	v_cmp_neq_f64_e64 s2, 0, v[8:9]
	s_load_b128 s[12:15], s[0:1], 0x70
	s_mov_b32 s3, 0
	v_lshl_or_b32 v40, v0, 2, 0xc00
	v_mul_u32_u24_e32 v41, 48, v0
	s_wait_kmcnt 0x0
	global_load_b128 v[12:15], v1, s[4:5]
	s_wait_xcnt 0x0
	v_mov_b32_e32 v1, 0
	s_load_b64 s[4:5], s[0:1], 0x50
	s_delay_alu instid0(VALU_DEP_1) | instskip(NEXT) | instid1(VALU_DEP_1)
	v_mov_b32_e32 v17, v1
	v_mul_u64_e32 v[20:21], s[14:15], v[16:17]
	v_bfe_u32 v17, v10, 6, 1
	v_dual_mov_b32 v11, v1 :: v_dual_lshlrev_b32 v10, 4, v16
	s_or_b32 s18, vcc_lo, s2
	s_cmp_lg_u32 s16, 1
	s_mov_b32 s2, s17
	s_cselect_b32 s16, -1, 0
	s_cmp_eq_u32 s20, 0
	s_wait_xcnt 0x0
	s_cselect_b32 s1, -1, 0
	s_delay_alu instid0(SALU_CYCLE_1) | instskip(SKIP_1) | instid1(VALU_DEP_1)
	v_cndmask_b32_e64 v18, 0, 1, s1
	s_and_b32 s1, s1, exec_lo
	v_dual_mov_b32 v17, v1 :: v_dual_lshlrev_b32 v16, v18, v17
	v_add_nc_u64_e32 v[18:19], s[12:13], v[10:11]
	s_delay_alu instid0(VALU_DEP_2) | instskip(NEXT) | instid1(VALU_DEP_1)
	v_lshlrev_b32_e32 v16, 4, v16
	v_add_nc_u64_e32 v[26:27], s[8:9], v[16:17]
	s_cselect_b32 s8, 24, 40
	s_mov_b32 s9, s3
	v_lshl_add_u64 v[20:21], v[20:21], 4, s[12:13]
	s_mov_b32 s12, s3
	s_wait_loadcnt 0x0
	v_sub_nc_u64_e64 v[22:23], v[12:13], s[2:3]
	v_sub_nc_u64_e64 v[24:25], v[14:15], s[2:3]
	v_cmp_lt_i64_e64 s0, v[12:13], v[14:15]
	s_cselect_b32 s2, 16, 32
	s_branch .LBB64_7
.LBB64_6:                               ;   in Loop: Header=BB64_7 Depth=1
	s_wait_xcnt 0x0
	s_or_b32 exec_lo, exec_lo, s1
	s_add_co_i32 s12, s12, 64
	s_delay_alu instid0(SALU_CYCLE_1)
	s_cmp_lt_i32 s12, s22
	s_cbranch_scc0 .LBB64_27
.LBB64_7:                               ; =>This Loop Header: Depth=1
                                        ;     Child Loop BB64_10 Depth 2
                                        ;       Child Loop BB64_14 Depth 3
	v_or_b32_e32 v28, s12, v0
	v_mov_b64_e32 v[30:31], 0
	v_mov_b64_e32 v[32:33], 0
	s_delay_alu instid0(VALU_DEP_3)
	v_ashrrev_i32_e32 v29, 31, v28
	s_and_saveexec_b32 s13, s0
	s_cbranch_execz .LBB64_16
; %bb.8:                                ;   in Loop: Header=BB64_7 Depth=1
	v_mov_b64_e32 v[30:31], 0
	v_mov_b64_e32 v[32:33], 0
	;; [unrolled: 1-line block ×3, first 2 shown]
	v_lshl_add_u64 v[34:35], v[28:29], 4, s[10:11]
	s_mov_b32 s19, 0
	v_cmp_gt_i32_e32 vcc_lo, s22, v28
	s_branch .LBB64_10
.LBB64_9:                               ;   in Loop: Header=BB64_10 Depth=2
	s_or_b32 exec_lo, exec_lo, s1
	v_add_nc_u64_e32 v[36:37], 64, v[36:37]
	s_delay_alu instid0(VALU_DEP_1) | instskip(SKIP_1) | instid1(SALU_CYCLE_1)
	v_cmp_ge_i64_e64 s1, v[36:37], v[24:25]
	s_or_b32 s19, s1, s19
	s_and_not1_b32 exec_lo, exec_lo, s19
	s_cbranch_execz .LBB64_15
.LBB64_10:                              ;   Parent Loop BB64_7 Depth=1
                                        ; =>  This Loop Header: Depth=2
                                        ;       Child Loop BB64_14 Depth 3
	s_delay_alu instid0(VALU_DEP_3)
	v_add_nc_u64_e32 v[38:39], v[36:37], v[0:1]
	v_mov_b64_e32 v[14:15], 0
	v_mov_b64_e32 v[16:17], 0
	;; [unrolled: 1-line block ×4, first 2 shown]
	v_mov_b32_e32 v42, 0
	s_mov_b32 s20, exec_lo
	v_cmpx_lt_i64_e64 v[38:39], v[24:25]
	s_cbranch_execz .LBB64_12
; %bb.11:                               ;   in Loop: Header=BB64_10 Depth=2
	v_lshlrev_b64_e32 v[10:11], 6, v[38:39]
	v_lshl_add_u64 v[12:13], v[38:39], 2, s[6:7]
	global_load_b32 v46, v[12:13], off
	v_add_nc_u64_e32 v[38:39], v[26:27], v[10:11]
	s_delay_alu instid0(VALU_DEP_1)
	v_add_nc_u64_e32 v[42:43], s[2:3], v[38:39]
	v_add_nc_u64_e32 v[44:45], s[8:9], v[38:39]
	s_clause 0x2
	global_load_b128 v[14:17], v[38:39], off
	global_load_b64 v[10:11], v[42:43], off
	global_load_b64 v[12:13], v[44:45], off
	s_wait_loadcnt 0x3
	s_wait_xcnt 0x2
	v_subrev_nc_u32_e32 v38, s17, v46
	s_wait_xcnt 0x1
	s_delay_alu instid0(VALU_DEP_1)
	v_lshlrev_b32_e32 v42, 1, v38
.LBB64_12:                              ;   in Loop: Header=BB64_10 Depth=2
	s_wait_xcnt 0x0
	s_or_b32 exec_lo, exec_lo, s20
	ds_store_b32 v40, v42
	s_wait_loadcnt 0x2
	ds_store_b128 v41, v[14:17]
	s_wait_loadcnt 0x0
	ds_store_b128 v41, v[10:13] offset:16
	s_wait_dscnt 0x0
	s_barrier_signal -1
	s_barrier_wait -1
	s_and_saveexec_b32 s1, vcc_lo
	s_cbranch_execz .LBB64_9
; %bb.13:                               ;   in Loop: Header=BB64_10 Depth=2
	v_mov_b32_e32 v10, 0
	s_mov_b32 s20, 0
.LBB64_14:                              ;   Parent Loop BB64_7 Depth=1
                                        ;     Parent Loop BB64_10 Depth=2
                                        ; =>    This Inner Loop Header: Depth=3
	s_delay_alu instid0(SALU_CYCLE_1) | instskip(SKIP_1) | instid1(SALU_CYCLE_1)
	v_add_nc_u32_e64 v11, 0xc00, s20
	s_add_co_i32 s20, s20, 8
	s_cmp_lg_u32 s20, 0x100
	ds_load_b64 v[16:17], v11
	s_wait_dscnt 0x0
	v_dual_mov_b32 v12, v16 :: v_dual_ashrrev_i32 v13, 31, v16
	v_add_nc_u32_e32 v38, 1, v16
	s_wait_kmcnt 0x0
	s_delay_alu instid0(VALU_DEP_2) | instskip(NEXT) | instid1(VALU_DEP_2)
	v_mul_u64_e32 v[12:13], s[4:5], v[12:13]
	v_ashrrev_i32_e32 v39, 31, v38
	s_delay_alu instid0(VALU_DEP_1) | instskip(NEXT) | instid1(VALU_DEP_3)
	v_mul_u64_e32 v[38:39], s[4:5], v[38:39]
	v_lshl_add_u64 v[12:13], v[12:13], 4, v[34:35]
	global_load_b128 v[12:15], v[12:13], off
	v_lshl_add_u64 v[38:39], v[38:39], 4, v[34:35]
	v_add_nc_u32_e32 v16, 1, v17
	global_load_b128 v[42:45], v[38:39], off
	s_wait_xcnt 0x0
	v_dual_mov_b32 v38, v17 :: v_dual_ashrrev_i32 v39, 31, v17
	v_ashrrev_i32_e32 v17, 31, v16
	s_delay_alu instid0(VALU_DEP_2) | instskip(NEXT) | instid1(VALU_DEP_2)
	v_mul_u64_e32 v[38:39], s[4:5], v[38:39]
	v_mul_u64_e32 v[16:17], s[4:5], v[16:17]
	s_delay_alu instid0(VALU_DEP_2) | instskip(NEXT) | instid1(VALU_DEP_2)
	v_lshl_add_u64 v[38:39], v[38:39], 4, v[34:35]
	v_lshl_add_u64 v[16:17], v[16:17], 4, v[34:35]
	s_clause 0x1
	global_load_b128 v[46:49], v[38:39], off
	global_load_b128 v[50:53], v[16:17], off
	ds_load_b128 v[54:57], v10
	ds_load_b128 v[58:61], v10 offset:16
	s_wait_loadcnt_dscnt 0x301
	v_fmac_f64_e32 v[32:33], v[54:55], v[12:13]
	v_fmac_f64_e32 v[30:31], v[56:57], v[12:13]
	s_delay_alu instid0(VALU_DEP_2) | instskip(NEXT) | instid1(VALU_DEP_2)
	v_fma_f64 v[12:13], -v[56:57], v[14:15], v[32:33]
	v_fmac_f64_e32 v[30:31], v[54:55], v[14:15]
	s_wait_loadcnt_dscnt 0x200
	s_delay_alu instid0(VALU_DEP_2) | instskip(NEXT) | instid1(VALU_DEP_2)
	v_fmac_f64_e32 v[12:13], v[58:59], v[42:43]
	v_fmac_f64_e32 v[30:31], v[60:61], v[42:43]
	s_wait_xcnt 0x0
	s_delay_alu instid0(VALU_DEP_2) | instskip(NEXT) | instid1(VALU_DEP_2)
	v_fma_f64 v[16:17], -v[60:61], v[44:45], v[12:13]
	v_fmac_f64_e32 v[30:31], v[58:59], v[44:45]
	ds_load_b128 v[12:15], v10 offset:48
	ds_load_b128 v[42:45], v10 offset:64
	v_add_nc_u32_e32 v10, 0x60, v10
	s_wait_loadcnt_dscnt 0x101
	v_fmac_f64_e32 v[16:17], v[12:13], v[46:47]
	v_fmac_f64_e32 v[30:31], v[14:15], v[46:47]
	s_delay_alu instid0(VALU_DEP_2) | instskip(NEXT) | instid1(VALU_DEP_2)
	v_fma_f64 v[14:15], -v[14:15], v[48:49], v[16:17]
	v_fmac_f64_e32 v[30:31], v[12:13], v[48:49]
	s_wait_loadcnt_dscnt 0x0
	s_delay_alu instid0(VALU_DEP_2) | instskip(NEXT) | instid1(VALU_DEP_2)
	v_fmac_f64_e32 v[14:15], v[42:43], v[50:51]
	v_fmac_f64_e32 v[30:31], v[44:45], v[50:51]
	s_delay_alu instid0(VALU_DEP_2) | instskip(NEXT) | instid1(VALU_DEP_2)
	v_fma_f64 v[32:33], -v[44:45], v[52:53], v[14:15]
	v_fmac_f64_e32 v[30:31], v[42:43], v[52:53]
	s_cbranch_scc1 .LBB64_14
	s_branch .LBB64_9
.LBB64_15:                              ;   in Loop: Header=BB64_7 Depth=1
	s_or_b32 exec_lo, exec_lo, s19
.LBB64_16:                              ;   in Loop: Header=BB64_7 Depth=1
	s_delay_alu instid0(SALU_CYCLE_1) | instskip(NEXT) | instid1(SALU_CYCLE_1)
	s_or_b32 exec_lo, exec_lo, s13
	s_mov_b32 s1, exec_lo
	v_cmpx_gt_i32_e64 s22, v28
	s_cbranch_execz .LBB64_6
; %bb.17:                               ;   in Loop: Header=BB64_7 Depth=1
	s_and_saveexec_b32 s13, s18
	s_delay_alu instid0(SALU_CYCLE_1)
	s_xor_b32 s13, exec_lo, s13
	s_cbranch_execz .LBB64_22
; %bb.18:                               ;   in Loop: Header=BB64_7 Depth=1
	s_and_b32 vcc_lo, exec_lo, s16
	s_mov_b32 s19, -1
	s_cbranch_vccz .LBB64_20
; %bb.19:                               ;   in Loop: Header=BB64_7 Depth=1
	v_lshl_add_u64 v[34:35], v[28:29], 4, v[20:21]
	v_mul_f64_e64 v[14:15], v[30:31], -v[4:5]
	v_mul_f64_e32 v[16:17], v[2:3], v[30:31]
	s_mov_b32 s19, 0
	global_load_b128 v[10:13], v[34:35], off
	v_fmac_f64_e32 v[14:15], v[2:3], v[32:33]
	v_fmac_f64_e32 v[16:17], v[4:5], v[32:33]
	s_wait_loadcnt 0x0
	s_delay_alu instid0(VALU_DEP_2) | instskip(NEXT) | instid1(VALU_DEP_2)
	v_fmac_f64_e32 v[14:15], v[6:7], v[10:11]
	v_fmac_f64_e32 v[16:17], v[8:9], v[10:11]
	s_delay_alu instid0(VALU_DEP_2) | instskip(NEXT) | instid1(VALU_DEP_2)
	v_fma_f64 v[14:15], -v[8:9], v[12:13], v[14:15]
	v_fmac_f64_e32 v[16:17], v[6:7], v[12:13]
	global_store_b128 v[34:35], v[14:17], off
.LBB64_20:                              ;   in Loop: Header=BB64_7 Depth=1
	s_and_not1_b32 vcc_lo, exec_lo, s19
	s_cbranch_vccnz .LBB64_22
; %bb.21:                               ;   in Loop: Header=BB64_7 Depth=1
	v_mul_u64_e32 v[10:11], s[14:15], v[28:29]
	s_wait_xcnt 0x0
	v_mul_f64_e64 v[14:15], v[30:31], -v[4:5]
	v_mul_f64_e32 v[16:17], v[2:3], v[30:31]
                                        ; implicit-def: $vgpr30_vgpr31
	s_delay_alu instid0(VALU_DEP_3) | instskip(NEXT) | instid1(VALU_DEP_3)
	v_lshl_add_u64 v[28:29], v[10:11], 4, v[18:19]
	v_fmac_f64_e32 v[14:15], v[2:3], v[32:33]
	s_delay_alu instid0(VALU_DEP_3) | instskip(SKIP_4) | instid1(VALU_DEP_2)
	v_fmac_f64_e32 v[16:17], v[4:5], v[32:33]
                                        ; implicit-def: $vgpr32_vgpr33
	global_load_b128 v[10:13], v[28:29], off
	s_wait_loadcnt 0x0
	v_fmac_f64_e32 v[14:15], v[6:7], v[10:11]
	v_fmac_f64_e32 v[16:17], v[8:9], v[10:11]
	v_fma_f64 v[14:15], -v[8:9], v[12:13], v[14:15]
	s_delay_alu instid0(VALU_DEP_2)
	v_fmac_f64_e32 v[16:17], v[6:7], v[12:13]
	global_store_b128 v[28:29], v[14:17], off
                                        ; implicit-def: $vgpr28
.LBB64_22:                              ;   in Loop: Header=BB64_7 Depth=1
	s_wait_xcnt 0x0
	s_and_not1_saveexec_b32 s13, s13
	s_cbranch_execz .LBB64_6
; %bb.23:                               ;   in Loop: Header=BB64_7 Depth=1
	v_mul_f64_e64 v[10:11], v[30:31], -v[4:5]
	v_mul_f64_e32 v[12:13], v[2:3], v[30:31]
	s_and_b32 vcc_lo, exec_lo, s16
	s_mov_b32 s13, -1
	s_delay_alu instid0(VALU_DEP_2) | instskip(NEXT) | instid1(VALU_DEP_2)
	v_fmac_f64_e32 v[10:11], v[2:3], v[32:33]
	v_fmac_f64_e32 v[12:13], v[4:5], v[32:33]
	s_cbranch_vccz .LBB64_25
; %bb.24:                               ;   in Loop: Header=BB64_7 Depth=1
	v_lshl_add_u64 v[14:15], v[28:29], 4, v[20:21]
	s_mov_b32 s13, 0
	global_store_b128 v[14:15], v[10:13], off
.LBB64_25:                              ;   in Loop: Header=BB64_7 Depth=1
	s_and_not1_b32 vcc_lo, exec_lo, s13
	s_cbranch_vccnz .LBB64_6
; %bb.26:                               ;   in Loop: Header=BB64_7 Depth=1
	s_wait_xcnt 0x0
	v_mul_u64_e32 v[14:15], s[14:15], v[28:29]
	s_delay_alu instid0(VALU_DEP_1)
	v_lshl_add_u64 v[14:15], v[14:15], 4, v[18:19]
	global_store_b128 v[14:15], v[10:13], off
	s_branch .LBB64_6
.LBB64_27:
	s_endpgm
	.section	.rodata,"a",@progbits
	.p2align	6, 0x0
	.amdhsa_kernel _ZN9rocsparseL29bsrmmnt_small_blockdim_kernelILj64ELj64ELj2Eli21rocsparse_complex_numIdES2_S2_S2_EEv20rocsparse_direction_T3_S4_llNS_24const_host_device_scalarIT7_EEPKT2_PKS4_PKT4_PKT5_llS7_PT6_ll16rocsparse_order_21rocsparse_index_base_b
		.amdhsa_group_segment_fixed_size 3328
		.amdhsa_private_segment_fixed_size 0
		.amdhsa_kernarg_size 408
		.amdhsa_user_sgpr_count 2
		.amdhsa_user_sgpr_dispatch_ptr 0
		.amdhsa_user_sgpr_queue_ptr 0
		.amdhsa_user_sgpr_kernarg_segment_ptr 1
		.amdhsa_user_sgpr_dispatch_id 0
		.amdhsa_user_sgpr_kernarg_preload_length 0
		.amdhsa_user_sgpr_kernarg_preload_offset 0
		.amdhsa_user_sgpr_private_segment_size 0
		.amdhsa_wavefront_size32 1
		.amdhsa_uses_dynamic_stack 0
		.amdhsa_enable_private_segment 0
		.amdhsa_system_sgpr_workgroup_id_x 1
		.amdhsa_system_sgpr_workgroup_id_y 0
		.amdhsa_system_sgpr_workgroup_id_z 0
		.amdhsa_system_sgpr_workgroup_info 0
		.amdhsa_system_vgpr_workitem_id 0
		.amdhsa_next_free_vgpr 62
		.amdhsa_next_free_sgpr 23
		.amdhsa_named_barrier_count 0
		.amdhsa_reserve_vcc 1
		.amdhsa_float_round_mode_32 0
		.amdhsa_float_round_mode_16_64 0
		.amdhsa_float_denorm_mode_32 3
		.amdhsa_float_denorm_mode_16_64 3
		.amdhsa_fp16_overflow 0
		.amdhsa_memory_ordered 1
		.amdhsa_forward_progress 1
		.amdhsa_inst_pref_size 13
		.amdhsa_round_robin_scheduling 0
		.amdhsa_exception_fp_ieee_invalid_op 0
		.amdhsa_exception_fp_denorm_src 0
		.amdhsa_exception_fp_ieee_div_zero 0
		.amdhsa_exception_fp_ieee_overflow 0
		.amdhsa_exception_fp_ieee_underflow 0
		.amdhsa_exception_fp_ieee_inexact 0
		.amdhsa_exception_int_div_zero 0
	.end_amdhsa_kernel
	.section	.text._ZN9rocsparseL29bsrmmnt_small_blockdim_kernelILj64ELj64ELj2Eli21rocsparse_complex_numIdES2_S2_S2_EEv20rocsparse_direction_T3_S4_llNS_24const_host_device_scalarIT7_EEPKT2_PKS4_PKT4_PKT5_llS7_PT6_ll16rocsparse_order_21rocsparse_index_base_b,"axG",@progbits,_ZN9rocsparseL29bsrmmnt_small_blockdim_kernelILj64ELj64ELj2Eli21rocsparse_complex_numIdES2_S2_S2_EEv20rocsparse_direction_T3_S4_llNS_24const_host_device_scalarIT7_EEPKT2_PKS4_PKT4_PKT5_llS7_PT6_ll16rocsparse_order_21rocsparse_index_base_b,comdat
.Lfunc_end64:
	.size	_ZN9rocsparseL29bsrmmnt_small_blockdim_kernelILj64ELj64ELj2Eli21rocsparse_complex_numIdES2_S2_S2_EEv20rocsparse_direction_T3_S4_llNS_24const_host_device_scalarIT7_EEPKT2_PKS4_PKT4_PKT5_llS7_PT6_ll16rocsparse_order_21rocsparse_index_base_b, .Lfunc_end64-_ZN9rocsparseL29bsrmmnt_small_blockdim_kernelILj64ELj64ELj2Eli21rocsparse_complex_numIdES2_S2_S2_EEv20rocsparse_direction_T3_S4_llNS_24const_host_device_scalarIT7_EEPKT2_PKS4_PKT4_PKT5_llS7_PT6_ll16rocsparse_order_21rocsparse_index_base_b
                                        ; -- End function
	.set _ZN9rocsparseL29bsrmmnt_small_blockdim_kernelILj64ELj64ELj2Eli21rocsparse_complex_numIdES2_S2_S2_EEv20rocsparse_direction_T3_S4_llNS_24const_host_device_scalarIT7_EEPKT2_PKS4_PKT4_PKT5_llS7_PT6_ll16rocsparse_order_21rocsparse_index_base_b.num_vgpr, 62
	.set _ZN9rocsparseL29bsrmmnt_small_blockdim_kernelILj64ELj64ELj2Eli21rocsparse_complex_numIdES2_S2_S2_EEv20rocsparse_direction_T3_S4_llNS_24const_host_device_scalarIT7_EEPKT2_PKS4_PKT4_PKT5_llS7_PT6_ll16rocsparse_order_21rocsparse_index_base_b.num_agpr, 0
	.set _ZN9rocsparseL29bsrmmnt_small_blockdim_kernelILj64ELj64ELj2Eli21rocsparse_complex_numIdES2_S2_S2_EEv20rocsparse_direction_T3_S4_llNS_24const_host_device_scalarIT7_EEPKT2_PKS4_PKT4_PKT5_llS7_PT6_ll16rocsparse_order_21rocsparse_index_base_b.numbered_sgpr, 23
	.set _ZN9rocsparseL29bsrmmnt_small_blockdim_kernelILj64ELj64ELj2Eli21rocsparse_complex_numIdES2_S2_S2_EEv20rocsparse_direction_T3_S4_llNS_24const_host_device_scalarIT7_EEPKT2_PKS4_PKT4_PKT5_llS7_PT6_ll16rocsparse_order_21rocsparse_index_base_b.num_named_barrier, 0
	.set _ZN9rocsparseL29bsrmmnt_small_blockdim_kernelILj64ELj64ELj2Eli21rocsparse_complex_numIdES2_S2_S2_EEv20rocsparse_direction_T3_S4_llNS_24const_host_device_scalarIT7_EEPKT2_PKS4_PKT4_PKT5_llS7_PT6_ll16rocsparse_order_21rocsparse_index_base_b.private_seg_size, 0
	.set _ZN9rocsparseL29bsrmmnt_small_blockdim_kernelILj64ELj64ELj2Eli21rocsparse_complex_numIdES2_S2_S2_EEv20rocsparse_direction_T3_S4_llNS_24const_host_device_scalarIT7_EEPKT2_PKS4_PKT4_PKT5_llS7_PT6_ll16rocsparse_order_21rocsparse_index_base_b.uses_vcc, 1
	.set _ZN9rocsparseL29bsrmmnt_small_blockdim_kernelILj64ELj64ELj2Eli21rocsparse_complex_numIdES2_S2_S2_EEv20rocsparse_direction_T3_S4_llNS_24const_host_device_scalarIT7_EEPKT2_PKS4_PKT4_PKT5_llS7_PT6_ll16rocsparse_order_21rocsparse_index_base_b.uses_flat_scratch, 0
	.set _ZN9rocsparseL29bsrmmnt_small_blockdim_kernelILj64ELj64ELj2Eli21rocsparse_complex_numIdES2_S2_S2_EEv20rocsparse_direction_T3_S4_llNS_24const_host_device_scalarIT7_EEPKT2_PKS4_PKT4_PKT5_llS7_PT6_ll16rocsparse_order_21rocsparse_index_base_b.has_dyn_sized_stack, 0
	.set _ZN9rocsparseL29bsrmmnt_small_blockdim_kernelILj64ELj64ELj2Eli21rocsparse_complex_numIdES2_S2_S2_EEv20rocsparse_direction_T3_S4_llNS_24const_host_device_scalarIT7_EEPKT2_PKS4_PKT4_PKT5_llS7_PT6_ll16rocsparse_order_21rocsparse_index_base_b.has_recursion, 0
	.set _ZN9rocsparseL29bsrmmnt_small_blockdim_kernelILj64ELj64ELj2Eli21rocsparse_complex_numIdES2_S2_S2_EEv20rocsparse_direction_T3_S4_llNS_24const_host_device_scalarIT7_EEPKT2_PKS4_PKT4_PKT5_llS7_PT6_ll16rocsparse_order_21rocsparse_index_base_b.has_indirect_call, 0
	.section	.AMDGPU.csdata,"",@progbits
; Kernel info:
; codeLenInByte = 1600
; TotalNumSgprs: 25
; NumVgprs: 62
; ScratchSize: 0
; MemoryBound: 0
; FloatMode: 240
; IeeeMode: 1
; LDSByteSize: 3328 bytes/workgroup (compile time only)
; SGPRBlocks: 0
; VGPRBlocks: 3
; NumSGPRsForWavesPerEU: 25
; NumVGPRsForWavesPerEU: 62
; NamedBarCnt: 0
; Occupancy: 16
; WaveLimiterHint : 0
; COMPUTE_PGM_RSRC2:SCRATCH_EN: 0
; COMPUTE_PGM_RSRC2:USER_SGPR: 2
; COMPUTE_PGM_RSRC2:TRAP_HANDLER: 0
; COMPUTE_PGM_RSRC2:TGID_X_EN: 1
; COMPUTE_PGM_RSRC2:TGID_Y_EN: 0
; COMPUTE_PGM_RSRC2:TGID_Z_EN: 0
; COMPUTE_PGM_RSRC2:TIDIG_COMP_CNT: 0
	.section	.text._ZN9rocsparseL29bsrmmnt_small_blockdim_kernelILj64ELj8ELj2Ell21rocsparse_complex_numIdES2_S2_S2_EEv20rocsparse_direction_T3_S4_llNS_24const_host_device_scalarIT7_EEPKT2_PKS4_PKT4_PKT5_llS7_PT6_ll16rocsparse_order_21rocsparse_index_base_b,"axG",@progbits,_ZN9rocsparseL29bsrmmnt_small_blockdim_kernelILj64ELj8ELj2Ell21rocsparse_complex_numIdES2_S2_S2_EEv20rocsparse_direction_T3_S4_llNS_24const_host_device_scalarIT7_EEPKT2_PKS4_PKT4_PKT5_llS7_PT6_ll16rocsparse_order_21rocsparse_index_base_b,comdat
	.globl	_ZN9rocsparseL29bsrmmnt_small_blockdim_kernelILj64ELj8ELj2Ell21rocsparse_complex_numIdES2_S2_S2_EEv20rocsparse_direction_T3_S4_llNS_24const_host_device_scalarIT7_EEPKT2_PKS4_PKT4_PKT5_llS7_PT6_ll16rocsparse_order_21rocsparse_index_base_b ; -- Begin function _ZN9rocsparseL29bsrmmnt_small_blockdim_kernelILj64ELj8ELj2Ell21rocsparse_complex_numIdES2_S2_S2_EEv20rocsparse_direction_T3_S4_llNS_24const_host_device_scalarIT7_EEPKT2_PKS4_PKT4_PKT5_llS7_PT6_ll16rocsparse_order_21rocsparse_index_base_b
	.p2align	8
	.type	_ZN9rocsparseL29bsrmmnt_small_blockdim_kernelILj64ELj8ELj2Ell21rocsparse_complex_numIdES2_S2_S2_EEv20rocsparse_direction_T3_S4_llNS_24const_host_device_scalarIT7_EEPKT2_PKS4_PKT4_PKT5_llS7_PT6_ll16rocsparse_order_21rocsparse_index_base_b,@function
_ZN9rocsparseL29bsrmmnt_small_blockdim_kernelILj64ELj8ELj2Ell21rocsparse_complex_numIdES2_S2_S2_EEv20rocsparse_direction_T3_S4_llNS_24const_host_device_scalarIT7_EEPKT2_PKS4_PKT4_PKT5_llS7_PT6_ll16rocsparse_order_21rocsparse_index_base_b: ; @_ZN9rocsparseL29bsrmmnt_small_blockdim_kernelILj64ELj8ELj2Ell21rocsparse_complex_numIdES2_S2_S2_EEv20rocsparse_direction_T3_S4_llNS_24const_host_device_scalarIT7_EEPKT2_PKS4_PKT4_PKT5_llS7_PT6_ll16rocsparse_order_21rocsparse_index_base_b
; %bb.0:
	s_clause 0x1
	s_load_b96 s[20:22], s[0:1], 0x90
	s_load_b64 s[2:3], s[0:1], 0x28
	v_mov_b32_e32 v1, 0
	s_add_nc_u64 s[4:5], s[0:1], 40
	s_load_b64 s[6:7], s[0:1], 0x68
	s_wait_kmcnt 0x0
	s_bitcmp1_b32 s22, 0
	s_cselect_b32 s3, s5, s3
	s_cselect_b32 s2, s4, s2
	flat_load_b128 v[2:5], v1, s[2:3]
	s_wait_xcnt 0x0
	s_add_nc_u64 s[2:3], s[0:1], 0x68
	s_delay_alu instid0(SALU_CYCLE_1)
	s_cselect_b32 s3, s3, s7
	s_cselect_b32 s2, s2, s6
	flat_load_b128 v[6:9], v1, s[2:3]
	s_wait_loadcnt_dscnt 0x101
	v_cmp_eq_f64_e32 vcc_lo, 0, v[2:3]
	s_wait_xcnt 0x0
	v_cmp_eq_f64_e64 s2, 0, v[4:5]
	s_and_b32 s4, vcc_lo, s2
	s_mov_b32 s2, -1
	s_and_saveexec_b32 s3, s4
	s_cbranch_execz .LBB65_2
; %bb.1:
	s_wait_loadcnt_dscnt 0x0
	v_cmp_neq_f64_e32 vcc_lo, 1.0, v[6:7]
	v_cmp_neq_f64_e64 s2, 0, v[8:9]
	s_or_b32 s2, vcc_lo, s2
	s_delay_alu instid0(SALU_CYCLE_1)
	s_or_not1_b32 s2, s2, exec_lo
.LBB65_2:
	s_or_b32 exec_lo, exec_lo, s3
	s_and_saveexec_b32 s3, s2
	s_cbranch_execz .LBB65_29
; %bb.3:
	s_clause 0x1
	s_load_b32 s2, s[0:1], 0xac
	s_load_b128 s[12:15], s[0:1], 0x8
	s_bfe_u32 s3, ttmp6, 0x4000c
	s_and_b32 s4, ttmp6, 15
	s_add_co_i32 s3, s3, 1
	s_getreg_b32 s5, hwreg(HW_REG_IB_STS2, 6, 4)
	s_mul_i32 s3, ttmp9, s3
	s_delay_alu instid0(SALU_CYCLE_1) | instskip(SKIP_4) | instid1(SALU_CYCLE_1)
	s_add_co_i32 s4, s4, s3
	s_wait_kmcnt 0x0
	s_and_b32 s2, s2, 0xffff
	s_cmp_eq_u32 s5, 0
	s_cselect_b32 s3, ttmp9, s4
	v_mad_u32 v1, s3, s2, v0
	s_delay_alu instid0(VALU_DEP_1) | instskip(NEXT) | instid1(VALU_DEP_1)
	v_dual_mov_b32 v11, 0 :: v_dual_lshrrev_b32 v10, 4, v1
	v_cmp_gt_i64_e32 vcc_lo, s[12:13], v[10:11]
	s_and_b32 exec_lo, exec_lo, vcc_lo
	s_cbranch_execz .LBB65_29
; %bb.4:
	v_cmp_lt_i64_e64 s2, s[14:15], 1
	s_and_b32 vcc_lo, exec_lo, s2
	s_cbranch_vccnz .LBB65_29
; %bb.5:
	s_load_b256 s[4:11], s[0:1], 0x38
	v_dual_lshlrev_b32 v10, 3, v10 :: v_dual_lshrrev_b32 v14, 3, v1
	s_load_b128 s[16:19], s[0:1], 0x78
	s_wait_loadcnt_dscnt 0x0
	v_cmp_neq_f64_e32 vcc_lo, 0, v[6:7]
	v_cmp_neq_f64_e64 s2, 0, v[8:9]
	v_dual_mov_b32 v15, 0 :: v_dual_lshlrev_b32 v1, 1, v1
	v_dual_lshrrev_b32 v22, 3, v0 :: v_dual_bitop2_b32 v0, 7, v0 bitop3:0x40
	s_mov_b32 s13, 0
	s_delay_alu instid0(VALU_DEP_2) | instskip(NEXT) | instid1(VALU_DEP_2)
	v_dual_mov_b32 v19, v15 :: v_dual_bitop2_b32 v18, 16, v1 bitop3:0x40
	v_lshl_or_b32 v42, v22, 6, 0xc00
	v_mul_u32_u24_e32 v43, 0x180, v22
	v_mul_u32_u24_e32 v30, 48, v0
	s_mov_b32 s12, s21
	v_mov_b64_e32 v[28:29], 0
	v_lshl_or_b32 v44, v0, 3, v42
	s_mov_b32 s3, s13
	s_wait_kmcnt 0x0
	global_load_b128 v[10:13], v10, s[4:5]
	s_wait_xcnt 0x0
	s_load_b64 s[4:5], s[0:1], 0x58
	v_add_nc_u64_e32 v[20:21], s[8:9], v[18:19]
	v_mul_u64_e32 v[16:17], s[18:19], v[14:15]
	s_wait_xcnt 0x0
	s_load_b32 s0, s[0:1], 0x0
	v_add_nc_u32_e32 v45, v43, v30
	s_mov_b64 s[8:9], 0
	s_delay_alu instid0(VALU_DEP_3)
	v_add_nc_u64_e32 v[22:23], v[20:21], v[18:19]
	v_lshl_add_u64 v[18:19], v[14:15], 4, s[16:17]
	s_or_b32 s22, vcc_lo, s2
	s_cmp_lg_u32 s20, 1
	s_cselect_b32 s23, -1, 0
	s_wait_kmcnt 0x0
	s_cmp_eq_u32 s0, 0
	s_cselect_b32 vcc_lo, -1, 0
	s_delay_alu instid0(SALU_CYCLE_1)
	v_dual_mov_b32 v1, v15 :: v_dual_cndmask_b32 v21, v21, v23, vcc_lo
	s_and_b32 s0, vcc_lo, exec_lo
	v_cndmask_b32_e32 v20, v20, v22, vcc_lo
	s_cselect_b32 s2, 24, 40
	v_lshl_add_u64 v[22:23], v[16:17], 4, s[16:17]
	s_cselect_b32 s16, 16, 32
	s_mov_b32 s17, s13
	s_lshl_b64 s[20:21], s[4:5], 4
	s_wait_loadcnt 0x0
	v_sub_nc_u64_e64 v[24:25], v[10:11], s[12:13]
	v_sub_nc_u64_e64 v[26:27], v[12:13], s[12:13]
	v_cmp_lt_i64_e64 s0, v[10:11], v[12:13]
	s_branch .LBB65_7
.LBB65_6:                               ;   in Loop: Header=BB65_7 Depth=1
	s_wait_xcnt 0x0
	s_or_b32 exec_lo, exec_lo, s1
	s_add_nc_u64 s[8:9], s[8:9], 8
	s_delay_alu instid0(SALU_CYCLE_1)
	v_cmp_lt_i64_e64 s1, s[8:9], s[14:15]
	s_and_b32 vcc_lo, exec_lo, s1
	s_cbranch_vccz .LBB65_29
.LBB65_7:                               ; =>This Loop Header: Depth=1
                                        ;     Child Loop BB65_10 Depth 2
                                        ;       Child Loop BB65_16 Depth 3
	v_mov_b64_e32 v[32:33], 0
	v_mov_b64_e32 v[34:35], 0
	v_dual_mov_b32 v31, s9 :: v_dual_bitop2_b32 v30, s8, v0 bitop3:0x54
	s_delay_alu instid0(VALU_DEP_4)
	s_and_saveexec_b32 s24, s0
	s_cbranch_execz .LBB65_18
; %bb.8:                                ;   in Loop: Header=BB65_7 Depth=1
	v_mov_b64_e32 v[32:33], 0
	v_mov_b64_e32 v[34:35], 0
	;; [unrolled: 1-line block ×3, first 2 shown]
	v_lshl_add_u64 v[36:37], v[30:31], 4, s[10:11]
	s_mov_b32 s25, 0
	v_cmp_gt_i64_e32 vcc_lo, s[14:15], v[30:31]
	s_branch .LBB65_10
.LBB65_9:                               ;   in Loop: Header=BB65_10 Depth=2
	s_or_b32 exec_lo, exec_lo, s1
	v_add_nc_u64_e32 v[38:39], 8, v[38:39]
	s_delay_alu instid0(VALU_DEP_1) | instskip(SKIP_1) | instid1(SALU_CYCLE_1)
	v_cmp_ge_i64_e64 s1, v[38:39], v[26:27]
	s_or_b32 s25, s1, s25
	s_and_not1_b32 exec_lo, exec_lo, s25
	s_cbranch_execz .LBB65_17
.LBB65_10:                              ;   Parent Loop BB65_7 Depth=1
                                        ; =>  This Loop Header: Depth=2
                                        ;       Child Loop BB65_16 Depth 3
	s_delay_alu instid0(VALU_DEP_3) | instskip(NEXT) | instid1(VALU_DEP_1)
	v_add_nc_u64_e32 v[40:41], v[38:39], v[0:1]
	v_cmp_ge_i64_e64 s1, v[40:41], v[26:27]
	s_and_saveexec_b32 s26, s1
	s_delay_alu instid0(SALU_CYCLE_1)
	s_xor_b32 s1, exec_lo, s26
; %bb.11:                               ;   in Loop: Header=BB65_10 Depth=2
	ds_store_b64 v44, v[28:29]
                                        ; implicit-def: $vgpr40_vgpr41
; %bb.12:                               ;   in Loop: Header=BB65_10 Depth=2
	s_or_saveexec_b32 s1, s1
	v_mov_b64_e32 v[14:15], 0
	v_mov_b64_e32 v[16:17], 0
	;; [unrolled: 1-line block ×4, first 2 shown]
	s_xor_b32 exec_lo, exec_lo, s1
	s_cbranch_execz .LBB65_14
; %bb.13:                               ;   in Loop: Header=BB65_10 Depth=2
	v_lshlrev_b64_e32 v[10:11], 6, v[40:41]
	v_lshl_add_u64 v[12:13], v[40:41], 3, s[6:7]
	global_load_b64 v[46:47], v[12:13], off
	v_add_nc_u64_e32 v[40:41], v[20:21], v[10:11]
	s_delay_alu instid0(VALU_DEP_1)
	v_add_nc_u64_e32 v[48:49], s[16:17], v[40:41]
	v_add_nc_u64_e32 v[50:51], s[2:3], v[40:41]
	s_clause 0x2
	global_load_b64 v[10:11], v[48:49], off
	global_load_b128 v[14:17], v[40:41], off
	global_load_b64 v[12:13], v[50:51], off
	s_wait_loadcnt 0x3
	s_wait_xcnt 0x1
	v_sub_nc_u64_e64 v[40:41], v[46:47], s[12:13]
	s_delay_alu instid0(VALU_DEP_1)
	v_lshlrev_b64_e32 v[40:41], 1, v[40:41]
	ds_store_b64 v44, v[40:41]
.LBB65_14:                              ;   in Loop: Header=BB65_10 Depth=2
	s_wait_xcnt 0x0
	s_or_b32 exec_lo, exec_lo, s1
	s_wait_loadcnt 0x1
	ds_store_b128 v45, v[14:17]
	s_wait_loadcnt 0x0
	ds_store_b128 v45, v[10:13] offset:16
	s_wait_dscnt 0x0
	s_barrier_signal -1
	s_barrier_wait -1
	s_and_saveexec_b32 s1, vcc_lo
	s_cbranch_execz .LBB65_9
; %bb.15:                               ;   in Loop: Header=BB65_10 Depth=2
	v_mov_b32_e32 v10, v43
	s_mov_b32 s26, 0
.LBB65_16:                              ;   Parent Loop BB65_7 Depth=1
                                        ;     Parent Loop BB65_10 Depth=2
                                        ; =>    This Inner Loop Header: Depth=3
	s_delay_alu instid0(SALU_CYCLE_1) | instskip(SKIP_1) | instid1(SALU_CYCLE_1)
	v_add_nc_u32_e32 v11, s26, v42
	s_add_co_i32 s26, s26, 16
	s_cmp_lg_u32 s26, 64
	ds_load_b128 v[12:15], v11
	s_wait_dscnt 0x0
	v_mul_u64_e32 v[12:13], s[4:5], v[12:13]
	s_delay_alu instid0(VALU_DEP_1)
	v_lshl_add_u64 v[12:13], v[12:13], 4, v[36:37]
	global_load_b128 v[46:49], v[12:13], off
	s_wait_xcnt 0x0
	v_add_nc_u64_e32 v[12:13], s[20:21], v[12:13]
	global_load_b128 v[50:53], v[12:13], off
	s_wait_xcnt 0x0
	v_mul_u64_e32 v[12:13], s[4:5], v[14:15]
	s_delay_alu instid0(VALU_DEP_1)
	v_lshl_add_u64 v[16:17], v[12:13], 4, v[36:37]
	global_load_b128 v[12:15], v[16:17], off
	s_wait_xcnt 0x0
	v_add_nc_u64_e32 v[16:17], s[20:21], v[16:17]
	global_load_b128 v[54:57], v[16:17], off
	ds_load_b128 v[58:61], v10
	ds_load_b128 v[62:65], v10 offset:16
	s_wait_loadcnt_dscnt 0x301
	v_fmac_f64_e32 v[34:35], v[58:59], v[46:47]
	v_fmac_f64_e32 v[32:33], v[60:61], v[46:47]
	s_wait_xcnt 0x0
	s_delay_alu instid0(VALU_DEP_2) | instskip(NEXT) | instid1(VALU_DEP_2)
	v_fma_f64 v[16:17], -v[60:61], v[48:49], v[34:35]
	v_fmac_f64_e32 v[32:33], v[58:59], v[48:49]
	s_wait_loadcnt_dscnt 0x200
	s_delay_alu instid0(VALU_DEP_2) | instskip(NEXT) | instid1(VALU_DEP_2)
	v_fmac_f64_e32 v[16:17], v[62:63], v[50:51]
	v_fmac_f64_e32 v[32:33], v[64:65], v[50:51]
	s_delay_alu instid0(VALU_DEP_2) | instskip(NEXT) | instid1(VALU_DEP_2)
	v_fma_f64 v[16:17], -v[64:65], v[52:53], v[16:17]
	v_fmac_f64_e32 v[32:33], v[62:63], v[52:53]
	ds_load_b128 v[46:49], v10 offset:48
	ds_load_b128 v[50:53], v10 offset:64
	v_add_nc_u32_e32 v10, 0x60, v10
	s_wait_loadcnt_dscnt 0x101
	v_fmac_f64_e32 v[16:17], v[46:47], v[12:13]
	v_fmac_f64_e32 v[32:33], v[48:49], v[12:13]
	s_delay_alu instid0(VALU_DEP_2) | instskip(NEXT) | instid1(VALU_DEP_2)
	v_fma_f64 v[12:13], -v[48:49], v[14:15], v[16:17]
	v_fmac_f64_e32 v[32:33], v[46:47], v[14:15]
	s_wait_loadcnt_dscnt 0x0
	s_delay_alu instid0(VALU_DEP_2) | instskip(NEXT) | instid1(VALU_DEP_2)
	v_fmac_f64_e32 v[12:13], v[50:51], v[54:55]
	v_fmac_f64_e32 v[32:33], v[52:53], v[54:55]
	s_delay_alu instid0(VALU_DEP_2) | instskip(NEXT) | instid1(VALU_DEP_2)
	v_fma_f64 v[34:35], -v[52:53], v[56:57], v[12:13]
	v_fmac_f64_e32 v[32:33], v[50:51], v[56:57]
	s_cbranch_scc1 .LBB65_16
	s_branch .LBB65_9
.LBB65_17:                              ;   in Loop: Header=BB65_7 Depth=1
	s_or_b32 exec_lo, exec_lo, s25
.LBB65_18:                              ;   in Loop: Header=BB65_7 Depth=1
	s_delay_alu instid0(SALU_CYCLE_1) | instskip(NEXT) | instid1(SALU_CYCLE_1)
	s_or_b32 exec_lo, exec_lo, s24
	s_mov_b32 s1, exec_lo
	v_cmpx_gt_i64_e64 s[14:15], v[30:31]
	s_cbranch_execz .LBB65_6
; %bb.19:                               ;   in Loop: Header=BB65_7 Depth=1
	s_and_saveexec_b32 s24, s22
	s_delay_alu instid0(SALU_CYCLE_1)
	s_xor_b32 s24, exec_lo, s24
	s_cbranch_execz .LBB65_24
; %bb.20:                               ;   in Loop: Header=BB65_7 Depth=1
	s_and_b32 vcc_lo, exec_lo, s23
	s_mov_b32 s25, -1
	s_cbranch_vccz .LBB65_22
; %bb.21:                               ;   in Loop: Header=BB65_7 Depth=1
	v_lshl_add_u64 v[36:37], v[30:31], 4, v[22:23]
	v_mul_f64_e64 v[14:15], v[32:33], -v[4:5]
	v_mul_f64_e32 v[16:17], v[2:3], v[32:33]
	s_mov_b32 s25, 0
	global_load_b128 v[10:13], v[36:37], off
	v_fmac_f64_e32 v[14:15], v[2:3], v[34:35]
	v_fmac_f64_e32 v[16:17], v[4:5], v[34:35]
	s_wait_loadcnt 0x0
	s_delay_alu instid0(VALU_DEP_2) | instskip(NEXT) | instid1(VALU_DEP_2)
	v_fmac_f64_e32 v[14:15], v[6:7], v[10:11]
	v_fmac_f64_e32 v[16:17], v[8:9], v[10:11]
	s_delay_alu instid0(VALU_DEP_2) | instskip(NEXT) | instid1(VALU_DEP_2)
	v_fma_f64 v[14:15], -v[8:9], v[12:13], v[14:15]
	v_fmac_f64_e32 v[16:17], v[6:7], v[12:13]
	global_store_b128 v[36:37], v[14:17], off
.LBB65_22:                              ;   in Loop: Header=BB65_7 Depth=1
	s_and_not1_b32 vcc_lo, exec_lo, s25
	s_cbranch_vccnz .LBB65_24
; %bb.23:                               ;   in Loop: Header=BB65_7 Depth=1
	v_mul_u64_e32 v[10:11], s[18:19], v[30:31]
	s_wait_xcnt 0x0
	v_mul_f64_e64 v[14:15], v[32:33], -v[4:5]
	v_mul_f64_e32 v[16:17], v[2:3], v[32:33]
                                        ; implicit-def: $vgpr32_vgpr33
	s_delay_alu instid0(VALU_DEP_3) | instskip(NEXT) | instid1(VALU_DEP_3)
	v_lshl_add_u64 v[30:31], v[10:11], 4, v[18:19]
	v_fmac_f64_e32 v[14:15], v[2:3], v[34:35]
	s_delay_alu instid0(VALU_DEP_3) | instskip(SKIP_4) | instid1(VALU_DEP_2)
	v_fmac_f64_e32 v[16:17], v[4:5], v[34:35]
                                        ; implicit-def: $vgpr34_vgpr35
	global_load_b128 v[10:13], v[30:31], off
	s_wait_loadcnt 0x0
	v_fmac_f64_e32 v[14:15], v[6:7], v[10:11]
	v_fmac_f64_e32 v[16:17], v[8:9], v[10:11]
	v_fma_f64 v[14:15], -v[8:9], v[12:13], v[14:15]
	s_delay_alu instid0(VALU_DEP_2)
	v_fmac_f64_e32 v[16:17], v[6:7], v[12:13]
	global_store_b128 v[30:31], v[14:17], off
                                        ; implicit-def: $vgpr30_vgpr31
.LBB65_24:                              ;   in Loop: Header=BB65_7 Depth=1
	s_wait_xcnt 0x0
	s_and_not1_saveexec_b32 s24, s24
	s_cbranch_execz .LBB65_6
; %bb.25:                               ;   in Loop: Header=BB65_7 Depth=1
	v_mul_f64_e64 v[10:11], v[32:33], -v[4:5]
	v_mul_f64_e32 v[12:13], v[2:3], v[32:33]
	s_and_b32 vcc_lo, exec_lo, s23
	s_mov_b32 s24, -1
	s_delay_alu instid0(VALU_DEP_2) | instskip(NEXT) | instid1(VALU_DEP_2)
	v_fmac_f64_e32 v[10:11], v[2:3], v[34:35]
	v_fmac_f64_e32 v[12:13], v[4:5], v[34:35]
	s_cbranch_vccz .LBB65_27
; %bb.26:                               ;   in Loop: Header=BB65_7 Depth=1
	v_lshl_add_u64 v[14:15], v[30:31], 4, v[22:23]
	s_mov_b32 s24, 0
	global_store_b128 v[14:15], v[10:13], off
.LBB65_27:                              ;   in Loop: Header=BB65_7 Depth=1
	s_and_not1_b32 vcc_lo, exec_lo, s24
	s_cbranch_vccnz .LBB65_6
; %bb.28:                               ;   in Loop: Header=BB65_7 Depth=1
	s_wait_xcnt 0x0
	v_mul_u64_e32 v[14:15], s[18:19], v[30:31]
	s_delay_alu instid0(VALU_DEP_1)
	v_lshl_add_u64 v[14:15], v[14:15], 4, v[18:19]
	global_store_b128 v[14:15], v[10:13], off
	s_branch .LBB65_6
.LBB65_29:
	s_sendmsg sendmsg(MSG_DEALLOC_VGPRS)
	s_endpgm
	.section	.rodata,"a",@progbits
	.p2align	6, 0x0
	.amdhsa_kernel _ZN9rocsparseL29bsrmmnt_small_blockdim_kernelILj64ELj8ELj2Ell21rocsparse_complex_numIdES2_S2_S2_EEv20rocsparse_direction_T3_S4_llNS_24const_host_device_scalarIT7_EEPKT2_PKS4_PKT4_PKT5_llS7_PT6_ll16rocsparse_order_21rocsparse_index_base_b
		.amdhsa_group_segment_fixed_size 3584
		.amdhsa_private_segment_fixed_size 0
		.amdhsa_kernarg_size 416
		.amdhsa_user_sgpr_count 2
		.amdhsa_user_sgpr_dispatch_ptr 0
		.amdhsa_user_sgpr_queue_ptr 0
		.amdhsa_user_sgpr_kernarg_segment_ptr 1
		.amdhsa_user_sgpr_dispatch_id 0
		.amdhsa_user_sgpr_kernarg_preload_length 0
		.amdhsa_user_sgpr_kernarg_preload_offset 0
		.amdhsa_user_sgpr_private_segment_size 0
		.amdhsa_wavefront_size32 1
		.amdhsa_uses_dynamic_stack 0
		.amdhsa_enable_private_segment 0
		.amdhsa_system_sgpr_workgroup_id_x 1
		.amdhsa_system_sgpr_workgroup_id_y 0
		.amdhsa_system_sgpr_workgroup_id_z 0
		.amdhsa_system_sgpr_workgroup_info 0
		.amdhsa_system_vgpr_workitem_id 0
		.amdhsa_next_free_vgpr 66
		.amdhsa_next_free_sgpr 27
		.amdhsa_named_barrier_count 0
		.amdhsa_reserve_vcc 1
		.amdhsa_float_round_mode_32 0
		.amdhsa_float_round_mode_16_64 0
		.amdhsa_float_denorm_mode_32 3
		.amdhsa_float_denorm_mode_16_64 3
		.amdhsa_fp16_overflow 0
		.amdhsa_memory_ordered 1
		.amdhsa_forward_progress 1
		.amdhsa_inst_pref_size 13
		.amdhsa_round_robin_scheduling 0
		.amdhsa_exception_fp_ieee_invalid_op 0
		.amdhsa_exception_fp_denorm_src 0
		.amdhsa_exception_fp_ieee_div_zero 0
		.amdhsa_exception_fp_ieee_overflow 0
		.amdhsa_exception_fp_ieee_underflow 0
		.amdhsa_exception_fp_ieee_inexact 0
		.amdhsa_exception_int_div_zero 0
	.end_amdhsa_kernel
	.section	.text._ZN9rocsparseL29bsrmmnt_small_blockdim_kernelILj64ELj8ELj2Ell21rocsparse_complex_numIdES2_S2_S2_EEv20rocsparse_direction_T3_S4_llNS_24const_host_device_scalarIT7_EEPKT2_PKS4_PKT4_PKT5_llS7_PT6_ll16rocsparse_order_21rocsparse_index_base_b,"axG",@progbits,_ZN9rocsparseL29bsrmmnt_small_blockdim_kernelILj64ELj8ELj2Ell21rocsparse_complex_numIdES2_S2_S2_EEv20rocsparse_direction_T3_S4_llNS_24const_host_device_scalarIT7_EEPKT2_PKS4_PKT4_PKT5_llS7_PT6_ll16rocsparse_order_21rocsparse_index_base_b,comdat
.Lfunc_end65:
	.size	_ZN9rocsparseL29bsrmmnt_small_blockdim_kernelILj64ELj8ELj2Ell21rocsparse_complex_numIdES2_S2_S2_EEv20rocsparse_direction_T3_S4_llNS_24const_host_device_scalarIT7_EEPKT2_PKS4_PKT4_PKT5_llS7_PT6_ll16rocsparse_order_21rocsparse_index_base_b, .Lfunc_end65-_ZN9rocsparseL29bsrmmnt_small_blockdim_kernelILj64ELj8ELj2Ell21rocsparse_complex_numIdES2_S2_S2_EEv20rocsparse_direction_T3_S4_llNS_24const_host_device_scalarIT7_EEPKT2_PKS4_PKT4_PKT5_llS7_PT6_ll16rocsparse_order_21rocsparse_index_base_b
                                        ; -- End function
	.set _ZN9rocsparseL29bsrmmnt_small_blockdim_kernelILj64ELj8ELj2Ell21rocsparse_complex_numIdES2_S2_S2_EEv20rocsparse_direction_T3_S4_llNS_24const_host_device_scalarIT7_EEPKT2_PKS4_PKT4_PKT5_llS7_PT6_ll16rocsparse_order_21rocsparse_index_base_b.num_vgpr, 66
	.set _ZN9rocsparseL29bsrmmnt_small_blockdim_kernelILj64ELj8ELj2Ell21rocsparse_complex_numIdES2_S2_S2_EEv20rocsparse_direction_T3_S4_llNS_24const_host_device_scalarIT7_EEPKT2_PKS4_PKT4_PKT5_llS7_PT6_ll16rocsparse_order_21rocsparse_index_base_b.num_agpr, 0
	.set _ZN9rocsparseL29bsrmmnt_small_blockdim_kernelILj64ELj8ELj2Ell21rocsparse_complex_numIdES2_S2_S2_EEv20rocsparse_direction_T3_S4_llNS_24const_host_device_scalarIT7_EEPKT2_PKS4_PKT4_PKT5_llS7_PT6_ll16rocsparse_order_21rocsparse_index_base_b.numbered_sgpr, 27
	.set _ZN9rocsparseL29bsrmmnt_small_blockdim_kernelILj64ELj8ELj2Ell21rocsparse_complex_numIdES2_S2_S2_EEv20rocsparse_direction_T3_S4_llNS_24const_host_device_scalarIT7_EEPKT2_PKS4_PKT4_PKT5_llS7_PT6_ll16rocsparse_order_21rocsparse_index_base_b.num_named_barrier, 0
	.set _ZN9rocsparseL29bsrmmnt_small_blockdim_kernelILj64ELj8ELj2Ell21rocsparse_complex_numIdES2_S2_S2_EEv20rocsparse_direction_T3_S4_llNS_24const_host_device_scalarIT7_EEPKT2_PKS4_PKT4_PKT5_llS7_PT6_ll16rocsparse_order_21rocsparse_index_base_b.private_seg_size, 0
	.set _ZN9rocsparseL29bsrmmnt_small_blockdim_kernelILj64ELj8ELj2Ell21rocsparse_complex_numIdES2_S2_S2_EEv20rocsparse_direction_T3_S4_llNS_24const_host_device_scalarIT7_EEPKT2_PKS4_PKT4_PKT5_llS7_PT6_ll16rocsparse_order_21rocsparse_index_base_b.uses_vcc, 1
	.set _ZN9rocsparseL29bsrmmnt_small_blockdim_kernelILj64ELj8ELj2Ell21rocsparse_complex_numIdES2_S2_S2_EEv20rocsparse_direction_T3_S4_llNS_24const_host_device_scalarIT7_EEPKT2_PKS4_PKT4_PKT5_llS7_PT6_ll16rocsparse_order_21rocsparse_index_base_b.uses_flat_scratch, 0
	.set _ZN9rocsparseL29bsrmmnt_small_blockdim_kernelILj64ELj8ELj2Ell21rocsparse_complex_numIdES2_S2_S2_EEv20rocsparse_direction_T3_S4_llNS_24const_host_device_scalarIT7_EEPKT2_PKS4_PKT4_PKT5_llS7_PT6_ll16rocsparse_order_21rocsparse_index_base_b.has_dyn_sized_stack, 0
	.set _ZN9rocsparseL29bsrmmnt_small_blockdim_kernelILj64ELj8ELj2Ell21rocsparse_complex_numIdES2_S2_S2_EEv20rocsparse_direction_T3_S4_llNS_24const_host_device_scalarIT7_EEPKT2_PKS4_PKT4_PKT5_llS7_PT6_ll16rocsparse_order_21rocsparse_index_base_b.has_recursion, 0
	.set _ZN9rocsparseL29bsrmmnt_small_blockdim_kernelILj64ELj8ELj2Ell21rocsparse_complex_numIdES2_S2_S2_EEv20rocsparse_direction_T3_S4_llNS_24const_host_device_scalarIT7_EEPKT2_PKS4_PKT4_PKT5_llS7_PT6_ll16rocsparse_order_21rocsparse_index_base_b.has_indirect_call, 0
	.section	.AMDGPU.csdata,"",@progbits
; Kernel info:
; codeLenInByte = 1640
; TotalNumSgprs: 29
; NumVgprs: 66
; ScratchSize: 0
; MemoryBound: 0
; FloatMode: 240
; IeeeMode: 1
; LDSByteSize: 3584 bytes/workgroup (compile time only)
; SGPRBlocks: 0
; VGPRBlocks: 4
; NumSGPRsForWavesPerEU: 29
; NumVGPRsForWavesPerEU: 66
; NamedBarCnt: 0
; Occupancy: 12
; WaveLimiterHint : 1
; COMPUTE_PGM_RSRC2:SCRATCH_EN: 0
; COMPUTE_PGM_RSRC2:USER_SGPR: 2
; COMPUTE_PGM_RSRC2:TRAP_HANDLER: 0
; COMPUTE_PGM_RSRC2:TGID_X_EN: 1
; COMPUTE_PGM_RSRC2:TGID_Y_EN: 0
; COMPUTE_PGM_RSRC2:TGID_Z_EN: 0
; COMPUTE_PGM_RSRC2:TIDIG_COMP_CNT: 0
	.section	.text._ZN9rocsparseL29bsrmmnt_small_blockdim_kernelILj64ELj16ELj2Ell21rocsparse_complex_numIdES2_S2_S2_EEv20rocsparse_direction_T3_S4_llNS_24const_host_device_scalarIT7_EEPKT2_PKS4_PKT4_PKT5_llS7_PT6_ll16rocsparse_order_21rocsparse_index_base_b,"axG",@progbits,_ZN9rocsparseL29bsrmmnt_small_blockdim_kernelILj64ELj16ELj2Ell21rocsparse_complex_numIdES2_S2_S2_EEv20rocsparse_direction_T3_S4_llNS_24const_host_device_scalarIT7_EEPKT2_PKS4_PKT4_PKT5_llS7_PT6_ll16rocsparse_order_21rocsparse_index_base_b,comdat
	.globl	_ZN9rocsparseL29bsrmmnt_small_blockdim_kernelILj64ELj16ELj2Ell21rocsparse_complex_numIdES2_S2_S2_EEv20rocsparse_direction_T3_S4_llNS_24const_host_device_scalarIT7_EEPKT2_PKS4_PKT4_PKT5_llS7_PT6_ll16rocsparse_order_21rocsparse_index_base_b ; -- Begin function _ZN9rocsparseL29bsrmmnt_small_blockdim_kernelILj64ELj16ELj2Ell21rocsparse_complex_numIdES2_S2_S2_EEv20rocsparse_direction_T3_S4_llNS_24const_host_device_scalarIT7_EEPKT2_PKS4_PKT4_PKT5_llS7_PT6_ll16rocsparse_order_21rocsparse_index_base_b
	.p2align	8
	.type	_ZN9rocsparseL29bsrmmnt_small_blockdim_kernelILj64ELj16ELj2Ell21rocsparse_complex_numIdES2_S2_S2_EEv20rocsparse_direction_T3_S4_llNS_24const_host_device_scalarIT7_EEPKT2_PKS4_PKT4_PKT5_llS7_PT6_ll16rocsparse_order_21rocsparse_index_base_b,@function
_ZN9rocsparseL29bsrmmnt_small_blockdim_kernelILj64ELj16ELj2Ell21rocsparse_complex_numIdES2_S2_S2_EEv20rocsparse_direction_T3_S4_llNS_24const_host_device_scalarIT7_EEPKT2_PKS4_PKT4_PKT5_llS7_PT6_ll16rocsparse_order_21rocsparse_index_base_b: ; @_ZN9rocsparseL29bsrmmnt_small_blockdim_kernelILj64ELj16ELj2Ell21rocsparse_complex_numIdES2_S2_S2_EEv20rocsparse_direction_T3_S4_llNS_24const_host_device_scalarIT7_EEPKT2_PKS4_PKT4_PKT5_llS7_PT6_ll16rocsparse_order_21rocsparse_index_base_b
; %bb.0:
	s_clause 0x1
	s_load_b96 s[20:22], s[0:1], 0x90
	s_load_b64 s[2:3], s[0:1], 0x28
	v_mov_b32_e32 v1, 0
	s_add_nc_u64 s[4:5], s[0:1], 40
	s_load_b64 s[6:7], s[0:1], 0x68
	s_wait_kmcnt 0x0
	s_bitcmp1_b32 s22, 0
	s_cselect_b32 s3, s5, s3
	s_cselect_b32 s2, s4, s2
	flat_load_b128 v[2:5], v1, s[2:3]
	s_wait_xcnt 0x0
	s_add_nc_u64 s[2:3], s[0:1], 0x68
	s_delay_alu instid0(SALU_CYCLE_1)
	s_cselect_b32 s3, s3, s7
	s_cselect_b32 s2, s2, s6
	flat_load_b128 v[6:9], v1, s[2:3]
	s_wait_loadcnt_dscnt 0x101
	v_cmp_eq_f64_e32 vcc_lo, 0, v[2:3]
	s_wait_xcnt 0x0
	v_cmp_eq_f64_e64 s2, 0, v[4:5]
	s_and_b32 s4, vcc_lo, s2
	s_mov_b32 s2, -1
	s_and_saveexec_b32 s3, s4
	s_cbranch_execz .LBB66_2
; %bb.1:
	s_wait_loadcnt_dscnt 0x0
	v_cmp_neq_f64_e32 vcc_lo, 1.0, v[6:7]
	v_cmp_neq_f64_e64 s2, 0, v[8:9]
	s_or_b32 s2, vcc_lo, s2
	s_delay_alu instid0(SALU_CYCLE_1)
	s_or_not1_b32 s2, s2, exec_lo
.LBB66_2:
	s_or_b32 exec_lo, exec_lo, s3
	s_and_saveexec_b32 s3, s2
	s_cbranch_execz .LBB66_29
; %bb.3:
	s_clause 0x1
	s_load_b32 s2, s[0:1], 0xac
	s_load_b128 s[12:15], s[0:1], 0x8
	s_bfe_u32 s3, ttmp6, 0x4000c
	s_and_b32 s4, ttmp6, 15
	s_add_co_i32 s3, s3, 1
	s_getreg_b32 s5, hwreg(HW_REG_IB_STS2, 6, 4)
	s_mul_i32 s3, ttmp9, s3
	s_delay_alu instid0(SALU_CYCLE_1) | instskip(SKIP_4) | instid1(SALU_CYCLE_1)
	s_add_co_i32 s4, s4, s3
	s_wait_kmcnt 0x0
	s_and_b32 s2, s2, 0xffff
	s_cmp_eq_u32 s5, 0
	s_cselect_b32 s3, ttmp9, s4
	v_mad_u32 v12, s3, s2, v0
	s_delay_alu instid0(VALU_DEP_1) | instskip(NEXT) | instid1(VALU_DEP_1)
	v_dual_mov_b32 v11, 0 :: v_dual_lshrrev_b32 v10, 5, v12
	v_cmp_gt_i64_e32 vcc_lo, s[12:13], v[10:11]
	s_and_b32 exec_lo, exec_lo, vcc_lo
	s_cbranch_execz .LBB66_29
; %bb.4:
	v_cmp_lt_i64_e64 s2, s[14:15], 1
	s_and_b32 vcc_lo, exec_lo, s2
	s_cbranch_vccnz .LBB66_29
; %bb.5:
	s_load_b256 s[4:11], s[0:1], 0x38
	v_dual_lshlrev_b32 v1, 3, v10 :: v_dual_lshrrev_b32 v10, 4, v12
	s_load_b128 s[16:19], s[0:1], 0x78
	s_wait_loadcnt_dscnt 0x0
	v_cmp_neq_f64_e32 vcc_lo, 0, v[6:7]
	v_cmp_neq_f64_e64 s2, 0, v[8:9]
	v_dual_mov_b32 v11, 0 :: v_dual_bitop2_b32 v18, 16, v12 bitop3:0x40
	s_mov_b32 s13, 0
	s_mov_b32 s12, s21
	v_mov_b64_e32 v[28:29], 0
	s_delay_alu instid0(VALU_DEP_2)
	v_mov_b32_e32 v19, v11
	s_mov_b32 s3, s13
	s_wait_kmcnt 0x0
	global_load_b128 v[14:17], v1, s[4:5]
	s_wait_xcnt 0x0
	s_load_b64 s[4:5], s[0:1], 0x58
	v_mov_b32_e32 v1, v11
	v_mul_u64_e32 v[22:23], s[18:19], v[10:11]
	s_wait_xcnt 0x0
	s_load_b32 s0, s[0:1], 0x0
	v_lshrrev_b32_e32 v10, 4, v0
	v_add_nc_u64_e32 v[20:21], s[8:9], v[18:19]
	v_and_b32_e32 v0, 15, v0
	s_mov_b64 s[8:9], 0
	s_delay_alu instid0(VALU_DEP_3) | instskip(SKIP_1) | instid1(VALU_DEP_3)
	v_lshl_or_b32 v42, v10, 7, 0xc00
	v_mul_u32_u24_e32 v43, 0x300, v10
	v_mul_u32_u24_e32 v30, 48, v0
	s_delay_alu instid0(VALU_DEP_3) | instskip(SKIP_2) | instid1(VALU_DEP_2)
	v_lshl_or_b32 v44, v0, 3, v42
	s_or_b32 s22, vcc_lo, s2
	s_cmp_lg_u32 s20, 1
	v_add_nc_u32_e32 v45, v43, v30
	s_cselect_b32 s23, -1, 0
	s_wait_kmcnt 0x0
	s_cmp_eq_u32 s0, 0
	s_cselect_b32 vcc_lo, -1, 0
	v_and_b32_e32 v10, -16, v12
	v_add_nc_u64_e32 v[12:13], v[20:21], v[18:19]
	s_and_b32 s0, vcc_lo, exec_lo
	s_cselect_b32 s2, 24, 40
	s_delay_alu instid0(VALU_DEP_1) | instskip(SKIP_1) | instid1(VALU_DEP_3)
	v_cndmask_b32_e32 v21, v21, v13, vcc_lo
	v_add_nc_u64_e32 v[18:19], s[16:17], v[10:11]
	v_cndmask_b32_e32 v20, v20, v12, vcc_lo
	v_lshl_add_u64 v[22:23], v[22:23], 4, s[16:17]
	s_cselect_b32 s16, 16, 32
	s_mov_b32 s17, s13
	s_lshl_b64 s[20:21], s[4:5], 4
	s_wait_loadcnt 0x0
	v_sub_nc_u64_e64 v[24:25], v[14:15], s[12:13]
	v_sub_nc_u64_e64 v[26:27], v[16:17], s[12:13]
	v_cmp_lt_i64_e64 s0, v[14:15], v[16:17]
	s_branch .LBB66_7
.LBB66_6:                               ;   in Loop: Header=BB66_7 Depth=1
	s_wait_xcnt 0x0
	s_or_b32 exec_lo, exec_lo, s1
	s_add_nc_u64 s[8:9], s[8:9], 16
	s_delay_alu instid0(SALU_CYCLE_1)
	v_cmp_lt_i64_e64 s1, s[8:9], s[14:15]
	s_and_b32 vcc_lo, exec_lo, s1
	s_cbranch_vccz .LBB66_29
.LBB66_7:                               ; =>This Loop Header: Depth=1
                                        ;     Child Loop BB66_10 Depth 2
                                        ;       Child Loop BB66_16 Depth 3
	v_mov_b64_e32 v[32:33], 0
	v_mov_b64_e32 v[34:35], 0
	v_dual_mov_b32 v31, s9 :: v_dual_bitop2_b32 v30, s8, v0 bitop3:0x54
	s_delay_alu instid0(VALU_DEP_4)
	s_and_saveexec_b32 s24, s0
	s_cbranch_execz .LBB66_18
; %bb.8:                                ;   in Loop: Header=BB66_7 Depth=1
	v_mov_b64_e32 v[32:33], 0
	v_mov_b64_e32 v[34:35], 0
	;; [unrolled: 1-line block ×3, first 2 shown]
	v_lshl_add_u64 v[36:37], v[30:31], 4, s[10:11]
	s_mov_b32 s25, 0
	v_cmp_gt_i64_e32 vcc_lo, s[14:15], v[30:31]
	s_branch .LBB66_10
.LBB66_9:                               ;   in Loop: Header=BB66_10 Depth=2
	s_or_b32 exec_lo, exec_lo, s1
	v_add_nc_u64_e32 v[38:39], 16, v[38:39]
	s_delay_alu instid0(VALU_DEP_1) | instskip(SKIP_1) | instid1(SALU_CYCLE_1)
	v_cmp_ge_i64_e64 s1, v[38:39], v[26:27]
	s_or_b32 s25, s1, s25
	s_and_not1_b32 exec_lo, exec_lo, s25
	s_cbranch_execz .LBB66_17
.LBB66_10:                              ;   Parent Loop BB66_7 Depth=1
                                        ; =>  This Loop Header: Depth=2
                                        ;       Child Loop BB66_16 Depth 3
	s_delay_alu instid0(VALU_DEP_3) | instskip(NEXT) | instid1(VALU_DEP_1)
	v_add_nc_u64_e32 v[40:41], v[38:39], v[0:1]
	v_cmp_ge_i64_e64 s1, v[40:41], v[26:27]
	s_and_saveexec_b32 s26, s1
	s_delay_alu instid0(SALU_CYCLE_1)
	s_xor_b32 s1, exec_lo, s26
; %bb.11:                               ;   in Loop: Header=BB66_10 Depth=2
	ds_store_b64 v44, v[28:29]
                                        ; implicit-def: $vgpr40_vgpr41
; %bb.12:                               ;   in Loop: Header=BB66_10 Depth=2
	s_or_saveexec_b32 s1, s1
	v_mov_b64_e32 v[14:15], 0
	v_mov_b64_e32 v[16:17], 0
	v_mov_b64_e32 v[10:11], 0
	v_mov_b64_e32 v[12:13], 0
	s_xor_b32 exec_lo, exec_lo, s1
	s_cbranch_execz .LBB66_14
; %bb.13:                               ;   in Loop: Header=BB66_10 Depth=2
	v_lshlrev_b64_e32 v[10:11], 6, v[40:41]
	v_lshl_add_u64 v[12:13], v[40:41], 3, s[6:7]
	global_load_b64 v[46:47], v[12:13], off
	v_add_nc_u64_e32 v[40:41], v[20:21], v[10:11]
	s_delay_alu instid0(VALU_DEP_1)
	v_add_nc_u64_e32 v[48:49], s[16:17], v[40:41]
	v_add_nc_u64_e32 v[50:51], s[2:3], v[40:41]
	s_clause 0x2
	global_load_b64 v[10:11], v[48:49], off
	global_load_b128 v[14:17], v[40:41], off
	global_load_b64 v[12:13], v[50:51], off
	s_wait_loadcnt 0x3
	s_wait_xcnt 0x1
	v_sub_nc_u64_e64 v[40:41], v[46:47], s[12:13]
	s_delay_alu instid0(VALU_DEP_1)
	v_lshlrev_b64_e32 v[40:41], 1, v[40:41]
	ds_store_b64 v44, v[40:41]
.LBB66_14:                              ;   in Loop: Header=BB66_10 Depth=2
	s_wait_xcnt 0x0
	s_or_b32 exec_lo, exec_lo, s1
	s_wait_loadcnt 0x1
	ds_store_b128 v45, v[14:17]
	s_wait_loadcnt 0x0
	ds_store_b128 v45, v[10:13] offset:16
	s_wait_dscnt 0x0
	s_barrier_signal -1
	s_barrier_wait -1
	s_and_saveexec_b32 s1, vcc_lo
	s_cbranch_execz .LBB66_9
; %bb.15:                               ;   in Loop: Header=BB66_10 Depth=2
	v_mov_b32_e32 v10, v43
	s_mov_b32 s26, 0
.LBB66_16:                              ;   Parent Loop BB66_7 Depth=1
                                        ;     Parent Loop BB66_10 Depth=2
                                        ; =>    This Inner Loop Header: Depth=3
	s_delay_alu instid0(SALU_CYCLE_1) | instskip(SKIP_1) | instid1(SALU_CYCLE_1)
	v_add_nc_u32_e32 v11, s26, v42
	s_add_co_i32 s26, s26, 16
	s_cmp_lg_u32 s26, 0x80
	ds_load_b128 v[12:15], v11
	s_wait_dscnt 0x0
	v_mul_u64_e32 v[12:13], s[4:5], v[12:13]
	s_delay_alu instid0(VALU_DEP_1)
	v_lshl_add_u64 v[12:13], v[12:13], 4, v[36:37]
	global_load_b128 v[46:49], v[12:13], off
	s_wait_xcnt 0x0
	v_add_nc_u64_e32 v[12:13], s[20:21], v[12:13]
	global_load_b128 v[50:53], v[12:13], off
	s_wait_xcnt 0x0
	v_mul_u64_e32 v[12:13], s[4:5], v[14:15]
	s_delay_alu instid0(VALU_DEP_1)
	v_lshl_add_u64 v[16:17], v[12:13], 4, v[36:37]
	global_load_b128 v[12:15], v[16:17], off
	s_wait_xcnt 0x0
	v_add_nc_u64_e32 v[16:17], s[20:21], v[16:17]
	global_load_b128 v[54:57], v[16:17], off
	ds_load_b128 v[58:61], v10
	ds_load_b128 v[62:65], v10 offset:16
	s_wait_loadcnt_dscnt 0x301
	v_fmac_f64_e32 v[34:35], v[58:59], v[46:47]
	v_fmac_f64_e32 v[32:33], v[60:61], v[46:47]
	s_wait_xcnt 0x0
	s_delay_alu instid0(VALU_DEP_2) | instskip(NEXT) | instid1(VALU_DEP_2)
	v_fma_f64 v[16:17], -v[60:61], v[48:49], v[34:35]
	v_fmac_f64_e32 v[32:33], v[58:59], v[48:49]
	s_wait_loadcnt_dscnt 0x200
	s_delay_alu instid0(VALU_DEP_2) | instskip(NEXT) | instid1(VALU_DEP_2)
	v_fmac_f64_e32 v[16:17], v[62:63], v[50:51]
	v_fmac_f64_e32 v[32:33], v[64:65], v[50:51]
	s_delay_alu instid0(VALU_DEP_2) | instskip(NEXT) | instid1(VALU_DEP_2)
	v_fma_f64 v[16:17], -v[64:65], v[52:53], v[16:17]
	v_fmac_f64_e32 v[32:33], v[62:63], v[52:53]
	ds_load_b128 v[46:49], v10 offset:48
	ds_load_b128 v[50:53], v10 offset:64
	v_add_nc_u32_e32 v10, 0x60, v10
	s_wait_loadcnt_dscnt 0x101
	v_fmac_f64_e32 v[16:17], v[46:47], v[12:13]
	v_fmac_f64_e32 v[32:33], v[48:49], v[12:13]
	s_delay_alu instid0(VALU_DEP_2) | instskip(NEXT) | instid1(VALU_DEP_2)
	v_fma_f64 v[12:13], -v[48:49], v[14:15], v[16:17]
	v_fmac_f64_e32 v[32:33], v[46:47], v[14:15]
	s_wait_loadcnt_dscnt 0x0
	s_delay_alu instid0(VALU_DEP_2) | instskip(NEXT) | instid1(VALU_DEP_2)
	v_fmac_f64_e32 v[12:13], v[50:51], v[54:55]
	v_fmac_f64_e32 v[32:33], v[52:53], v[54:55]
	s_delay_alu instid0(VALU_DEP_2) | instskip(NEXT) | instid1(VALU_DEP_2)
	v_fma_f64 v[34:35], -v[52:53], v[56:57], v[12:13]
	v_fmac_f64_e32 v[32:33], v[50:51], v[56:57]
	s_cbranch_scc1 .LBB66_16
	s_branch .LBB66_9
.LBB66_17:                              ;   in Loop: Header=BB66_7 Depth=1
	s_or_b32 exec_lo, exec_lo, s25
.LBB66_18:                              ;   in Loop: Header=BB66_7 Depth=1
	s_delay_alu instid0(SALU_CYCLE_1) | instskip(NEXT) | instid1(SALU_CYCLE_1)
	s_or_b32 exec_lo, exec_lo, s24
	s_mov_b32 s1, exec_lo
	v_cmpx_gt_i64_e64 s[14:15], v[30:31]
	s_cbranch_execz .LBB66_6
; %bb.19:                               ;   in Loop: Header=BB66_7 Depth=1
	s_and_saveexec_b32 s24, s22
	s_delay_alu instid0(SALU_CYCLE_1)
	s_xor_b32 s24, exec_lo, s24
	s_cbranch_execz .LBB66_24
; %bb.20:                               ;   in Loop: Header=BB66_7 Depth=1
	s_and_b32 vcc_lo, exec_lo, s23
	s_mov_b32 s25, -1
	s_cbranch_vccz .LBB66_22
; %bb.21:                               ;   in Loop: Header=BB66_7 Depth=1
	v_lshl_add_u64 v[36:37], v[30:31], 4, v[22:23]
	v_mul_f64_e64 v[14:15], v[32:33], -v[4:5]
	v_mul_f64_e32 v[16:17], v[2:3], v[32:33]
	s_mov_b32 s25, 0
	global_load_b128 v[10:13], v[36:37], off
	v_fmac_f64_e32 v[14:15], v[2:3], v[34:35]
	v_fmac_f64_e32 v[16:17], v[4:5], v[34:35]
	s_wait_loadcnt 0x0
	s_delay_alu instid0(VALU_DEP_2) | instskip(NEXT) | instid1(VALU_DEP_2)
	v_fmac_f64_e32 v[14:15], v[6:7], v[10:11]
	v_fmac_f64_e32 v[16:17], v[8:9], v[10:11]
	s_delay_alu instid0(VALU_DEP_2) | instskip(NEXT) | instid1(VALU_DEP_2)
	v_fma_f64 v[14:15], -v[8:9], v[12:13], v[14:15]
	v_fmac_f64_e32 v[16:17], v[6:7], v[12:13]
	global_store_b128 v[36:37], v[14:17], off
.LBB66_22:                              ;   in Loop: Header=BB66_7 Depth=1
	s_and_not1_b32 vcc_lo, exec_lo, s25
	s_cbranch_vccnz .LBB66_24
; %bb.23:                               ;   in Loop: Header=BB66_7 Depth=1
	v_mul_u64_e32 v[10:11], s[18:19], v[30:31]
	s_wait_xcnt 0x0
	v_mul_f64_e64 v[14:15], v[32:33], -v[4:5]
	v_mul_f64_e32 v[16:17], v[2:3], v[32:33]
                                        ; implicit-def: $vgpr32_vgpr33
	s_delay_alu instid0(VALU_DEP_3) | instskip(NEXT) | instid1(VALU_DEP_3)
	v_lshl_add_u64 v[30:31], v[10:11], 4, v[18:19]
	v_fmac_f64_e32 v[14:15], v[2:3], v[34:35]
	s_delay_alu instid0(VALU_DEP_3) | instskip(SKIP_4) | instid1(VALU_DEP_2)
	v_fmac_f64_e32 v[16:17], v[4:5], v[34:35]
                                        ; implicit-def: $vgpr34_vgpr35
	global_load_b128 v[10:13], v[30:31], off
	s_wait_loadcnt 0x0
	v_fmac_f64_e32 v[14:15], v[6:7], v[10:11]
	v_fmac_f64_e32 v[16:17], v[8:9], v[10:11]
	v_fma_f64 v[14:15], -v[8:9], v[12:13], v[14:15]
	s_delay_alu instid0(VALU_DEP_2)
	v_fmac_f64_e32 v[16:17], v[6:7], v[12:13]
	global_store_b128 v[30:31], v[14:17], off
                                        ; implicit-def: $vgpr30_vgpr31
.LBB66_24:                              ;   in Loop: Header=BB66_7 Depth=1
	s_wait_xcnt 0x0
	s_and_not1_saveexec_b32 s24, s24
	s_cbranch_execz .LBB66_6
; %bb.25:                               ;   in Loop: Header=BB66_7 Depth=1
	v_mul_f64_e64 v[10:11], v[32:33], -v[4:5]
	v_mul_f64_e32 v[12:13], v[2:3], v[32:33]
	s_and_b32 vcc_lo, exec_lo, s23
	s_mov_b32 s24, -1
	s_delay_alu instid0(VALU_DEP_2) | instskip(NEXT) | instid1(VALU_DEP_2)
	v_fmac_f64_e32 v[10:11], v[2:3], v[34:35]
	v_fmac_f64_e32 v[12:13], v[4:5], v[34:35]
	s_cbranch_vccz .LBB66_27
; %bb.26:                               ;   in Loop: Header=BB66_7 Depth=1
	v_lshl_add_u64 v[14:15], v[30:31], 4, v[22:23]
	s_mov_b32 s24, 0
	global_store_b128 v[14:15], v[10:13], off
.LBB66_27:                              ;   in Loop: Header=BB66_7 Depth=1
	s_and_not1_b32 vcc_lo, exec_lo, s24
	s_cbranch_vccnz .LBB66_6
; %bb.28:                               ;   in Loop: Header=BB66_7 Depth=1
	s_wait_xcnt 0x0
	v_mul_u64_e32 v[14:15], s[18:19], v[30:31]
	s_delay_alu instid0(VALU_DEP_1)
	v_lshl_add_u64 v[14:15], v[14:15], 4, v[18:19]
	global_store_b128 v[14:15], v[10:13], off
	s_branch .LBB66_6
.LBB66_29:
	s_sendmsg sendmsg(MSG_DEALLOC_VGPRS)
	s_endpgm
	.section	.rodata,"a",@progbits
	.p2align	6, 0x0
	.amdhsa_kernel _ZN9rocsparseL29bsrmmnt_small_blockdim_kernelILj64ELj16ELj2Ell21rocsparse_complex_numIdES2_S2_S2_EEv20rocsparse_direction_T3_S4_llNS_24const_host_device_scalarIT7_EEPKT2_PKS4_PKT4_PKT5_llS7_PT6_ll16rocsparse_order_21rocsparse_index_base_b
		.amdhsa_group_segment_fixed_size 3584
		.amdhsa_private_segment_fixed_size 0
		.amdhsa_kernarg_size 416
		.amdhsa_user_sgpr_count 2
		.amdhsa_user_sgpr_dispatch_ptr 0
		.amdhsa_user_sgpr_queue_ptr 0
		.amdhsa_user_sgpr_kernarg_segment_ptr 1
		.amdhsa_user_sgpr_dispatch_id 0
		.amdhsa_user_sgpr_kernarg_preload_length 0
		.amdhsa_user_sgpr_kernarg_preload_offset 0
		.amdhsa_user_sgpr_private_segment_size 0
		.amdhsa_wavefront_size32 1
		.amdhsa_uses_dynamic_stack 0
		.amdhsa_enable_private_segment 0
		.amdhsa_system_sgpr_workgroup_id_x 1
		.amdhsa_system_sgpr_workgroup_id_y 0
		.amdhsa_system_sgpr_workgroup_id_z 0
		.amdhsa_system_sgpr_workgroup_info 0
		.amdhsa_system_vgpr_workitem_id 0
		.amdhsa_next_free_vgpr 66
		.amdhsa_next_free_sgpr 27
		.amdhsa_named_barrier_count 0
		.amdhsa_reserve_vcc 1
		.amdhsa_float_round_mode_32 0
		.amdhsa_float_round_mode_16_64 0
		.amdhsa_float_denorm_mode_32 3
		.amdhsa_float_denorm_mode_16_64 3
		.amdhsa_fp16_overflow 0
		.amdhsa_memory_ordered 1
		.amdhsa_forward_progress 1
		.amdhsa_inst_pref_size 13
		.amdhsa_round_robin_scheduling 0
		.amdhsa_exception_fp_ieee_invalid_op 0
		.amdhsa_exception_fp_denorm_src 0
		.amdhsa_exception_fp_ieee_div_zero 0
		.amdhsa_exception_fp_ieee_overflow 0
		.amdhsa_exception_fp_ieee_underflow 0
		.amdhsa_exception_fp_ieee_inexact 0
		.amdhsa_exception_int_div_zero 0
	.end_amdhsa_kernel
	.section	.text._ZN9rocsparseL29bsrmmnt_small_blockdim_kernelILj64ELj16ELj2Ell21rocsparse_complex_numIdES2_S2_S2_EEv20rocsparse_direction_T3_S4_llNS_24const_host_device_scalarIT7_EEPKT2_PKS4_PKT4_PKT5_llS7_PT6_ll16rocsparse_order_21rocsparse_index_base_b,"axG",@progbits,_ZN9rocsparseL29bsrmmnt_small_blockdim_kernelILj64ELj16ELj2Ell21rocsparse_complex_numIdES2_S2_S2_EEv20rocsparse_direction_T3_S4_llNS_24const_host_device_scalarIT7_EEPKT2_PKS4_PKT4_PKT5_llS7_PT6_ll16rocsparse_order_21rocsparse_index_base_b,comdat
.Lfunc_end66:
	.size	_ZN9rocsparseL29bsrmmnt_small_blockdim_kernelILj64ELj16ELj2Ell21rocsparse_complex_numIdES2_S2_S2_EEv20rocsparse_direction_T3_S4_llNS_24const_host_device_scalarIT7_EEPKT2_PKS4_PKT4_PKT5_llS7_PT6_ll16rocsparse_order_21rocsparse_index_base_b, .Lfunc_end66-_ZN9rocsparseL29bsrmmnt_small_blockdim_kernelILj64ELj16ELj2Ell21rocsparse_complex_numIdES2_S2_S2_EEv20rocsparse_direction_T3_S4_llNS_24const_host_device_scalarIT7_EEPKT2_PKS4_PKT4_PKT5_llS7_PT6_ll16rocsparse_order_21rocsparse_index_base_b
                                        ; -- End function
	.set _ZN9rocsparseL29bsrmmnt_small_blockdim_kernelILj64ELj16ELj2Ell21rocsparse_complex_numIdES2_S2_S2_EEv20rocsparse_direction_T3_S4_llNS_24const_host_device_scalarIT7_EEPKT2_PKS4_PKT4_PKT5_llS7_PT6_ll16rocsparse_order_21rocsparse_index_base_b.num_vgpr, 66
	.set _ZN9rocsparseL29bsrmmnt_small_blockdim_kernelILj64ELj16ELj2Ell21rocsparse_complex_numIdES2_S2_S2_EEv20rocsparse_direction_T3_S4_llNS_24const_host_device_scalarIT7_EEPKT2_PKS4_PKT4_PKT5_llS7_PT6_ll16rocsparse_order_21rocsparse_index_base_b.num_agpr, 0
	.set _ZN9rocsparseL29bsrmmnt_small_blockdim_kernelILj64ELj16ELj2Ell21rocsparse_complex_numIdES2_S2_S2_EEv20rocsparse_direction_T3_S4_llNS_24const_host_device_scalarIT7_EEPKT2_PKS4_PKT4_PKT5_llS7_PT6_ll16rocsparse_order_21rocsparse_index_base_b.numbered_sgpr, 27
	.set _ZN9rocsparseL29bsrmmnt_small_blockdim_kernelILj64ELj16ELj2Ell21rocsparse_complex_numIdES2_S2_S2_EEv20rocsparse_direction_T3_S4_llNS_24const_host_device_scalarIT7_EEPKT2_PKS4_PKT4_PKT5_llS7_PT6_ll16rocsparse_order_21rocsparse_index_base_b.num_named_barrier, 0
	.set _ZN9rocsparseL29bsrmmnt_small_blockdim_kernelILj64ELj16ELj2Ell21rocsparse_complex_numIdES2_S2_S2_EEv20rocsparse_direction_T3_S4_llNS_24const_host_device_scalarIT7_EEPKT2_PKS4_PKT4_PKT5_llS7_PT6_ll16rocsparse_order_21rocsparse_index_base_b.private_seg_size, 0
	.set _ZN9rocsparseL29bsrmmnt_small_blockdim_kernelILj64ELj16ELj2Ell21rocsparse_complex_numIdES2_S2_S2_EEv20rocsparse_direction_T3_S4_llNS_24const_host_device_scalarIT7_EEPKT2_PKS4_PKT4_PKT5_llS7_PT6_ll16rocsparse_order_21rocsparse_index_base_b.uses_vcc, 1
	.set _ZN9rocsparseL29bsrmmnt_small_blockdim_kernelILj64ELj16ELj2Ell21rocsparse_complex_numIdES2_S2_S2_EEv20rocsparse_direction_T3_S4_llNS_24const_host_device_scalarIT7_EEPKT2_PKS4_PKT4_PKT5_llS7_PT6_ll16rocsparse_order_21rocsparse_index_base_b.uses_flat_scratch, 0
	.set _ZN9rocsparseL29bsrmmnt_small_blockdim_kernelILj64ELj16ELj2Ell21rocsparse_complex_numIdES2_S2_S2_EEv20rocsparse_direction_T3_S4_llNS_24const_host_device_scalarIT7_EEPKT2_PKS4_PKT4_PKT5_llS7_PT6_ll16rocsparse_order_21rocsparse_index_base_b.has_dyn_sized_stack, 0
	.set _ZN9rocsparseL29bsrmmnt_small_blockdim_kernelILj64ELj16ELj2Ell21rocsparse_complex_numIdES2_S2_S2_EEv20rocsparse_direction_T3_S4_llNS_24const_host_device_scalarIT7_EEPKT2_PKS4_PKT4_PKT5_llS7_PT6_ll16rocsparse_order_21rocsparse_index_base_b.has_recursion, 0
	.set _ZN9rocsparseL29bsrmmnt_small_blockdim_kernelILj64ELj16ELj2Ell21rocsparse_complex_numIdES2_S2_S2_EEv20rocsparse_direction_T3_S4_llNS_24const_host_device_scalarIT7_EEPKT2_PKS4_PKT4_PKT5_llS7_PT6_ll16rocsparse_order_21rocsparse_index_base_b.has_indirect_call, 0
	.section	.AMDGPU.csdata,"",@progbits
; Kernel info:
; codeLenInByte = 1632
; TotalNumSgprs: 29
; NumVgprs: 66
; ScratchSize: 0
; MemoryBound: 0
; FloatMode: 240
; IeeeMode: 1
; LDSByteSize: 3584 bytes/workgroup (compile time only)
; SGPRBlocks: 0
; VGPRBlocks: 4
; NumSGPRsForWavesPerEU: 29
; NumVGPRsForWavesPerEU: 66
; NamedBarCnt: 0
; Occupancy: 12
; WaveLimiterHint : 1
; COMPUTE_PGM_RSRC2:SCRATCH_EN: 0
; COMPUTE_PGM_RSRC2:USER_SGPR: 2
; COMPUTE_PGM_RSRC2:TRAP_HANDLER: 0
; COMPUTE_PGM_RSRC2:TGID_X_EN: 1
; COMPUTE_PGM_RSRC2:TGID_Y_EN: 0
; COMPUTE_PGM_RSRC2:TGID_Z_EN: 0
; COMPUTE_PGM_RSRC2:TIDIG_COMP_CNT: 0
	.section	.text._ZN9rocsparseL29bsrmmnt_small_blockdim_kernelILj64ELj32ELj2Ell21rocsparse_complex_numIdES2_S2_S2_EEv20rocsparse_direction_T3_S4_llNS_24const_host_device_scalarIT7_EEPKT2_PKS4_PKT4_PKT5_llS7_PT6_ll16rocsparse_order_21rocsparse_index_base_b,"axG",@progbits,_ZN9rocsparseL29bsrmmnt_small_blockdim_kernelILj64ELj32ELj2Ell21rocsparse_complex_numIdES2_S2_S2_EEv20rocsparse_direction_T3_S4_llNS_24const_host_device_scalarIT7_EEPKT2_PKS4_PKT4_PKT5_llS7_PT6_ll16rocsparse_order_21rocsparse_index_base_b,comdat
	.globl	_ZN9rocsparseL29bsrmmnt_small_blockdim_kernelILj64ELj32ELj2Ell21rocsparse_complex_numIdES2_S2_S2_EEv20rocsparse_direction_T3_S4_llNS_24const_host_device_scalarIT7_EEPKT2_PKS4_PKT4_PKT5_llS7_PT6_ll16rocsparse_order_21rocsparse_index_base_b ; -- Begin function _ZN9rocsparseL29bsrmmnt_small_blockdim_kernelILj64ELj32ELj2Ell21rocsparse_complex_numIdES2_S2_S2_EEv20rocsparse_direction_T3_S4_llNS_24const_host_device_scalarIT7_EEPKT2_PKS4_PKT4_PKT5_llS7_PT6_ll16rocsparse_order_21rocsparse_index_base_b
	.p2align	8
	.type	_ZN9rocsparseL29bsrmmnt_small_blockdim_kernelILj64ELj32ELj2Ell21rocsparse_complex_numIdES2_S2_S2_EEv20rocsparse_direction_T3_S4_llNS_24const_host_device_scalarIT7_EEPKT2_PKS4_PKT4_PKT5_llS7_PT6_ll16rocsparse_order_21rocsparse_index_base_b,@function
_ZN9rocsparseL29bsrmmnt_small_blockdim_kernelILj64ELj32ELj2Ell21rocsparse_complex_numIdES2_S2_S2_EEv20rocsparse_direction_T3_S4_llNS_24const_host_device_scalarIT7_EEPKT2_PKS4_PKT4_PKT5_llS7_PT6_ll16rocsparse_order_21rocsparse_index_base_b: ; @_ZN9rocsparseL29bsrmmnt_small_blockdim_kernelILj64ELj32ELj2Ell21rocsparse_complex_numIdES2_S2_S2_EEv20rocsparse_direction_T3_S4_llNS_24const_host_device_scalarIT7_EEPKT2_PKS4_PKT4_PKT5_llS7_PT6_ll16rocsparse_order_21rocsparse_index_base_b
; %bb.0:
	s_clause 0x1
	s_load_b96 s[20:22], s[0:1], 0x90
	s_load_b64 s[2:3], s[0:1], 0x28
	v_mov_b32_e32 v1, 0
	s_add_nc_u64 s[4:5], s[0:1], 40
	s_load_b64 s[6:7], s[0:1], 0x68
	s_wait_kmcnt 0x0
	s_bitcmp1_b32 s22, 0
	s_cselect_b32 s3, s5, s3
	s_cselect_b32 s2, s4, s2
	flat_load_b128 v[2:5], v1, s[2:3]
	s_wait_xcnt 0x0
	s_add_nc_u64 s[2:3], s[0:1], 0x68
	s_delay_alu instid0(SALU_CYCLE_1)
	s_cselect_b32 s3, s3, s7
	s_cselect_b32 s2, s2, s6
	flat_load_b128 v[6:9], v1, s[2:3]
	s_wait_loadcnt_dscnt 0x101
	v_cmp_eq_f64_e32 vcc_lo, 0, v[2:3]
	s_wait_xcnt 0x0
	v_cmp_eq_f64_e64 s2, 0, v[4:5]
	s_and_b32 s4, vcc_lo, s2
	s_mov_b32 s2, -1
	s_and_saveexec_b32 s3, s4
	s_cbranch_execz .LBB67_2
; %bb.1:
	s_wait_loadcnt_dscnt 0x0
	v_cmp_neq_f64_e32 vcc_lo, 1.0, v[6:7]
	v_cmp_neq_f64_e64 s2, 0, v[8:9]
	s_or_b32 s2, vcc_lo, s2
	s_delay_alu instid0(SALU_CYCLE_1)
	s_or_not1_b32 s2, s2, exec_lo
.LBB67_2:
	s_or_b32 exec_lo, exec_lo, s3
	s_and_saveexec_b32 s3, s2
	s_cbranch_execz .LBB67_29
; %bb.3:
	s_clause 0x1
	s_load_b32 s2, s[0:1], 0xac
	s_load_b128 s[12:15], s[0:1], 0x8
	s_bfe_u32 s3, ttmp6, 0x4000c
	s_and_b32 s4, ttmp6, 15
	s_add_co_i32 s3, s3, 1
	s_getreg_b32 s5, hwreg(HW_REG_IB_STS2, 6, 4)
	s_mul_i32 s3, ttmp9, s3
	s_delay_alu instid0(SALU_CYCLE_1) | instskip(SKIP_4) | instid1(SALU_CYCLE_1)
	s_add_co_i32 s4, s4, s3
	s_wait_kmcnt 0x0
	s_and_b32 s2, s2, 0xffff
	s_cmp_eq_u32 s5, 0
	s_cselect_b32 s3, ttmp9, s4
	v_mad_u32 v1, s3, s2, v0
	s_delay_alu instid0(VALU_DEP_1) | instskip(NEXT) | instid1(VALU_DEP_1)
	v_dual_mov_b32 v11, 0 :: v_dual_lshrrev_b32 v10, 6, v1
	v_cmp_gt_i64_e32 vcc_lo, s[12:13], v[10:11]
	s_and_b32 exec_lo, exec_lo, vcc_lo
	s_cbranch_execz .LBB67_29
; %bb.4:
	v_cmp_lt_i64_e64 s2, s[14:15], 1
	s_and_b32 vcc_lo, exec_lo, s2
	s_cbranch_vccnz .LBB67_29
; %bb.5:
	s_load_b256 s[4:11], s[0:1], 0x38
	v_dual_lshlrev_b32 v10, 3, v10 :: v_dual_lshrrev_b32 v14, 5, v1
	s_load_b128 s[16:19], s[0:1], 0x78
	s_wait_loadcnt_dscnt 0x0
	v_cmp_neq_f64_e32 vcc_lo, 0, v[6:7]
	v_cmp_neq_f64_e64 s2, 0, v[8:9]
	v_dual_mov_b32 v15, 0 :: v_dual_lshrrev_b32 v22, 5, v0
	v_and_b32_e32 v0, 31, v0
	s_mov_b32 s13, 0
	s_mov_b32 s12, s21
	v_mov_b64_e32 v[28:29], 0
	v_lshl_or_b32 v42, v22, 8, 0xc00
	v_mul_u32_u24_e32 v43, 0x600, v22
	v_mul_u32_u24_e32 v30, 48, v0
	s_mov_b32 s3, s13
	s_delay_alu instid0(VALU_DEP_3) | instskip(NEXT) | instid1(VALU_DEP_2)
	v_lshl_or_b32 v44, v0, 3, v42
	v_add_nc_u32_e32 v45, v43, v30
	s_wait_kmcnt 0x0
	global_load_b128 v[10:13], v10, s[4:5]
	s_wait_xcnt 0x0
	s_load_b64 s[4:5], s[0:1], 0x58
	v_mul_u64_e32 v[16:17], s[18:19], v[14:15]
	s_wait_xcnt 0x0
	s_load_b32 s0, s[0:1], 0x0
	v_dual_mov_b32 v19, v15 :: v_dual_lshlrev_b32 v14, 4, v14
	s_delay_alu instid0(VALU_DEP_1) | instskip(NEXT) | instid1(VALU_DEP_1)
	v_and_b32_e32 v18, 16, v14
	v_add_nc_u64_e32 v[20:21], s[8:9], v[18:19]
	s_mov_b64 s[8:9], 0
	s_or_b32 s22, vcc_lo, s2
	s_cmp_lg_u32 s20, 1
	s_cselect_b32 s23, -1, 0
	s_delay_alu instid0(VALU_DEP_1)
	v_add_nc_u64_e32 v[22:23], v[20:21], v[18:19]
	v_add_nc_u64_e32 v[18:19], s[16:17], v[14:15]
	s_wait_kmcnt 0x0
	s_cmp_eq_u32 s0, 0
	s_cselect_b32 vcc_lo, -1, 0
	v_mov_b32_e32 v1, v15
	s_and_b32 s0, vcc_lo, exec_lo
	v_dual_cndmask_b32 v21, v21, v23 :: v_dual_cndmask_b32 v20, v20, v22
	s_cselect_b32 s2, 24, 40
	v_lshl_add_u64 v[22:23], v[16:17], 4, s[16:17]
	s_cselect_b32 s16, 16, 32
	s_mov_b32 s17, s13
	s_lshl_b64 s[20:21], s[4:5], 4
	s_wait_loadcnt 0x0
	v_sub_nc_u64_e64 v[24:25], v[10:11], s[12:13]
	v_sub_nc_u64_e64 v[26:27], v[12:13], s[12:13]
	v_cmp_lt_i64_e64 s0, v[10:11], v[12:13]
	s_branch .LBB67_7
.LBB67_6:                               ;   in Loop: Header=BB67_7 Depth=1
	s_wait_xcnt 0x0
	s_or_b32 exec_lo, exec_lo, s1
	s_add_nc_u64 s[8:9], s[8:9], 32
	s_delay_alu instid0(SALU_CYCLE_1)
	v_cmp_lt_i64_e64 s1, s[8:9], s[14:15]
	s_and_b32 vcc_lo, exec_lo, s1
	s_cbranch_vccz .LBB67_29
.LBB67_7:                               ; =>This Loop Header: Depth=1
                                        ;     Child Loop BB67_10 Depth 2
                                        ;       Child Loop BB67_16 Depth 3
	v_mov_b64_e32 v[32:33], 0
	v_mov_b64_e32 v[34:35], 0
	v_dual_mov_b32 v31, s9 :: v_dual_bitop2_b32 v30, s8, v0 bitop3:0x54
	s_delay_alu instid0(VALU_DEP_4)
	s_and_saveexec_b32 s24, s0
	s_cbranch_execz .LBB67_18
; %bb.8:                                ;   in Loop: Header=BB67_7 Depth=1
	v_mov_b64_e32 v[32:33], 0
	v_mov_b64_e32 v[34:35], 0
	v_mov_b64_e32 v[38:39], v[24:25]
	v_lshl_add_u64 v[36:37], v[30:31], 4, s[10:11]
	s_mov_b32 s25, 0
	v_cmp_gt_i64_e32 vcc_lo, s[14:15], v[30:31]
	s_branch .LBB67_10
.LBB67_9:                               ;   in Loop: Header=BB67_10 Depth=2
	s_or_b32 exec_lo, exec_lo, s1
	v_add_nc_u64_e32 v[38:39], 32, v[38:39]
	s_delay_alu instid0(VALU_DEP_1) | instskip(SKIP_1) | instid1(SALU_CYCLE_1)
	v_cmp_ge_i64_e64 s1, v[38:39], v[26:27]
	s_or_b32 s25, s1, s25
	s_and_not1_b32 exec_lo, exec_lo, s25
	s_cbranch_execz .LBB67_17
.LBB67_10:                              ;   Parent Loop BB67_7 Depth=1
                                        ; =>  This Loop Header: Depth=2
                                        ;       Child Loop BB67_16 Depth 3
	s_delay_alu instid0(VALU_DEP_3) | instskip(NEXT) | instid1(VALU_DEP_1)
	v_add_nc_u64_e32 v[40:41], v[38:39], v[0:1]
	v_cmp_ge_i64_e64 s1, v[40:41], v[26:27]
	s_and_saveexec_b32 s26, s1
	s_delay_alu instid0(SALU_CYCLE_1)
	s_xor_b32 s1, exec_lo, s26
; %bb.11:                               ;   in Loop: Header=BB67_10 Depth=2
	ds_store_b64 v44, v[28:29]
                                        ; implicit-def: $vgpr40_vgpr41
; %bb.12:                               ;   in Loop: Header=BB67_10 Depth=2
	s_or_saveexec_b32 s1, s1
	v_mov_b64_e32 v[14:15], 0
	v_mov_b64_e32 v[16:17], 0
	v_mov_b64_e32 v[10:11], 0
	v_mov_b64_e32 v[12:13], 0
	s_xor_b32 exec_lo, exec_lo, s1
	s_cbranch_execz .LBB67_14
; %bb.13:                               ;   in Loop: Header=BB67_10 Depth=2
	v_lshlrev_b64_e32 v[10:11], 6, v[40:41]
	v_lshl_add_u64 v[12:13], v[40:41], 3, s[6:7]
	global_load_b64 v[46:47], v[12:13], off
	v_add_nc_u64_e32 v[40:41], v[20:21], v[10:11]
	s_delay_alu instid0(VALU_DEP_1)
	v_add_nc_u64_e32 v[48:49], s[16:17], v[40:41]
	v_add_nc_u64_e32 v[50:51], s[2:3], v[40:41]
	s_clause 0x2
	global_load_b64 v[10:11], v[48:49], off
	global_load_b128 v[14:17], v[40:41], off
	global_load_b64 v[12:13], v[50:51], off
	s_wait_loadcnt 0x3
	s_wait_xcnt 0x1
	v_sub_nc_u64_e64 v[40:41], v[46:47], s[12:13]
	s_delay_alu instid0(VALU_DEP_1)
	v_lshlrev_b64_e32 v[40:41], 1, v[40:41]
	ds_store_b64 v44, v[40:41]
.LBB67_14:                              ;   in Loop: Header=BB67_10 Depth=2
	s_wait_xcnt 0x0
	s_or_b32 exec_lo, exec_lo, s1
	s_wait_loadcnt 0x1
	ds_store_b128 v45, v[14:17]
	s_wait_loadcnt 0x0
	ds_store_b128 v45, v[10:13] offset:16
	s_wait_dscnt 0x0
	s_barrier_signal -1
	s_barrier_wait -1
	s_and_saveexec_b32 s1, vcc_lo
	s_cbranch_execz .LBB67_9
; %bb.15:                               ;   in Loop: Header=BB67_10 Depth=2
	v_mov_b32_e32 v10, v43
	s_mov_b32 s26, 0
.LBB67_16:                              ;   Parent Loop BB67_7 Depth=1
                                        ;     Parent Loop BB67_10 Depth=2
                                        ; =>    This Inner Loop Header: Depth=3
	s_delay_alu instid0(SALU_CYCLE_1) | instskip(SKIP_1) | instid1(SALU_CYCLE_1)
	v_add_nc_u32_e32 v11, s26, v42
	s_add_co_i32 s26, s26, 16
	s_cmp_lg_u32 s26, 0x100
	ds_load_b128 v[12:15], v11
	s_wait_dscnt 0x0
	v_mul_u64_e32 v[12:13], s[4:5], v[12:13]
	s_delay_alu instid0(VALU_DEP_1)
	v_lshl_add_u64 v[12:13], v[12:13], 4, v[36:37]
	global_load_b128 v[46:49], v[12:13], off
	s_wait_xcnt 0x0
	v_add_nc_u64_e32 v[12:13], s[20:21], v[12:13]
	global_load_b128 v[50:53], v[12:13], off
	s_wait_xcnt 0x0
	v_mul_u64_e32 v[12:13], s[4:5], v[14:15]
	s_delay_alu instid0(VALU_DEP_1)
	v_lshl_add_u64 v[16:17], v[12:13], 4, v[36:37]
	global_load_b128 v[12:15], v[16:17], off
	s_wait_xcnt 0x0
	v_add_nc_u64_e32 v[16:17], s[20:21], v[16:17]
	global_load_b128 v[54:57], v[16:17], off
	ds_load_b128 v[58:61], v10
	ds_load_b128 v[62:65], v10 offset:16
	s_wait_loadcnt_dscnt 0x301
	v_fmac_f64_e32 v[34:35], v[58:59], v[46:47]
	v_fmac_f64_e32 v[32:33], v[60:61], v[46:47]
	s_wait_xcnt 0x0
	s_delay_alu instid0(VALU_DEP_2) | instskip(NEXT) | instid1(VALU_DEP_2)
	v_fma_f64 v[16:17], -v[60:61], v[48:49], v[34:35]
	v_fmac_f64_e32 v[32:33], v[58:59], v[48:49]
	s_wait_loadcnt_dscnt 0x200
	s_delay_alu instid0(VALU_DEP_2) | instskip(NEXT) | instid1(VALU_DEP_2)
	v_fmac_f64_e32 v[16:17], v[62:63], v[50:51]
	v_fmac_f64_e32 v[32:33], v[64:65], v[50:51]
	s_delay_alu instid0(VALU_DEP_2) | instskip(NEXT) | instid1(VALU_DEP_2)
	v_fma_f64 v[16:17], -v[64:65], v[52:53], v[16:17]
	v_fmac_f64_e32 v[32:33], v[62:63], v[52:53]
	ds_load_b128 v[46:49], v10 offset:48
	ds_load_b128 v[50:53], v10 offset:64
	v_add_nc_u32_e32 v10, 0x60, v10
	s_wait_loadcnt_dscnt 0x101
	v_fmac_f64_e32 v[16:17], v[46:47], v[12:13]
	v_fmac_f64_e32 v[32:33], v[48:49], v[12:13]
	s_delay_alu instid0(VALU_DEP_2) | instskip(NEXT) | instid1(VALU_DEP_2)
	v_fma_f64 v[12:13], -v[48:49], v[14:15], v[16:17]
	v_fmac_f64_e32 v[32:33], v[46:47], v[14:15]
	s_wait_loadcnt_dscnt 0x0
	s_delay_alu instid0(VALU_DEP_2) | instskip(NEXT) | instid1(VALU_DEP_2)
	v_fmac_f64_e32 v[12:13], v[50:51], v[54:55]
	v_fmac_f64_e32 v[32:33], v[52:53], v[54:55]
	s_delay_alu instid0(VALU_DEP_2) | instskip(NEXT) | instid1(VALU_DEP_2)
	v_fma_f64 v[34:35], -v[52:53], v[56:57], v[12:13]
	v_fmac_f64_e32 v[32:33], v[50:51], v[56:57]
	s_cbranch_scc1 .LBB67_16
	s_branch .LBB67_9
.LBB67_17:                              ;   in Loop: Header=BB67_7 Depth=1
	s_or_b32 exec_lo, exec_lo, s25
.LBB67_18:                              ;   in Loop: Header=BB67_7 Depth=1
	s_delay_alu instid0(SALU_CYCLE_1) | instskip(NEXT) | instid1(SALU_CYCLE_1)
	s_or_b32 exec_lo, exec_lo, s24
	s_mov_b32 s1, exec_lo
	v_cmpx_gt_i64_e64 s[14:15], v[30:31]
	s_cbranch_execz .LBB67_6
; %bb.19:                               ;   in Loop: Header=BB67_7 Depth=1
	s_and_saveexec_b32 s24, s22
	s_delay_alu instid0(SALU_CYCLE_1)
	s_xor_b32 s24, exec_lo, s24
	s_cbranch_execz .LBB67_24
; %bb.20:                               ;   in Loop: Header=BB67_7 Depth=1
	s_and_b32 vcc_lo, exec_lo, s23
	s_mov_b32 s25, -1
	s_cbranch_vccz .LBB67_22
; %bb.21:                               ;   in Loop: Header=BB67_7 Depth=1
	v_lshl_add_u64 v[36:37], v[30:31], 4, v[22:23]
	v_mul_f64_e64 v[14:15], v[32:33], -v[4:5]
	v_mul_f64_e32 v[16:17], v[2:3], v[32:33]
	s_mov_b32 s25, 0
	global_load_b128 v[10:13], v[36:37], off
	v_fmac_f64_e32 v[14:15], v[2:3], v[34:35]
	v_fmac_f64_e32 v[16:17], v[4:5], v[34:35]
	s_wait_loadcnt 0x0
	s_delay_alu instid0(VALU_DEP_2) | instskip(NEXT) | instid1(VALU_DEP_2)
	v_fmac_f64_e32 v[14:15], v[6:7], v[10:11]
	v_fmac_f64_e32 v[16:17], v[8:9], v[10:11]
	s_delay_alu instid0(VALU_DEP_2) | instskip(NEXT) | instid1(VALU_DEP_2)
	v_fma_f64 v[14:15], -v[8:9], v[12:13], v[14:15]
	v_fmac_f64_e32 v[16:17], v[6:7], v[12:13]
	global_store_b128 v[36:37], v[14:17], off
.LBB67_22:                              ;   in Loop: Header=BB67_7 Depth=1
	s_and_not1_b32 vcc_lo, exec_lo, s25
	s_cbranch_vccnz .LBB67_24
; %bb.23:                               ;   in Loop: Header=BB67_7 Depth=1
	v_mul_u64_e32 v[10:11], s[18:19], v[30:31]
	s_wait_xcnt 0x0
	v_mul_f64_e64 v[14:15], v[32:33], -v[4:5]
	v_mul_f64_e32 v[16:17], v[2:3], v[32:33]
                                        ; implicit-def: $vgpr32_vgpr33
	s_delay_alu instid0(VALU_DEP_3) | instskip(NEXT) | instid1(VALU_DEP_3)
	v_lshl_add_u64 v[30:31], v[10:11], 4, v[18:19]
	v_fmac_f64_e32 v[14:15], v[2:3], v[34:35]
	s_delay_alu instid0(VALU_DEP_3) | instskip(SKIP_4) | instid1(VALU_DEP_2)
	v_fmac_f64_e32 v[16:17], v[4:5], v[34:35]
                                        ; implicit-def: $vgpr34_vgpr35
	global_load_b128 v[10:13], v[30:31], off
	s_wait_loadcnt 0x0
	v_fmac_f64_e32 v[14:15], v[6:7], v[10:11]
	v_fmac_f64_e32 v[16:17], v[8:9], v[10:11]
	v_fma_f64 v[14:15], -v[8:9], v[12:13], v[14:15]
	s_delay_alu instid0(VALU_DEP_2)
	v_fmac_f64_e32 v[16:17], v[6:7], v[12:13]
	global_store_b128 v[30:31], v[14:17], off
                                        ; implicit-def: $vgpr30_vgpr31
.LBB67_24:                              ;   in Loop: Header=BB67_7 Depth=1
	s_wait_xcnt 0x0
	s_and_not1_saveexec_b32 s24, s24
	s_cbranch_execz .LBB67_6
; %bb.25:                               ;   in Loop: Header=BB67_7 Depth=1
	v_mul_f64_e64 v[10:11], v[32:33], -v[4:5]
	v_mul_f64_e32 v[12:13], v[2:3], v[32:33]
	s_and_b32 vcc_lo, exec_lo, s23
	s_mov_b32 s24, -1
	s_delay_alu instid0(VALU_DEP_2) | instskip(NEXT) | instid1(VALU_DEP_2)
	v_fmac_f64_e32 v[10:11], v[2:3], v[34:35]
	v_fmac_f64_e32 v[12:13], v[4:5], v[34:35]
	s_cbranch_vccz .LBB67_27
; %bb.26:                               ;   in Loop: Header=BB67_7 Depth=1
	v_lshl_add_u64 v[14:15], v[30:31], 4, v[22:23]
	s_mov_b32 s24, 0
	global_store_b128 v[14:15], v[10:13], off
.LBB67_27:                              ;   in Loop: Header=BB67_7 Depth=1
	s_and_not1_b32 vcc_lo, exec_lo, s24
	s_cbranch_vccnz .LBB67_6
; %bb.28:                               ;   in Loop: Header=BB67_7 Depth=1
	s_wait_xcnt 0x0
	v_mul_u64_e32 v[14:15], s[18:19], v[30:31]
	s_delay_alu instid0(VALU_DEP_1)
	v_lshl_add_u64 v[14:15], v[14:15], 4, v[18:19]
	global_store_b128 v[14:15], v[10:13], off
	s_branch .LBB67_6
.LBB67_29:
	s_sendmsg sendmsg(MSG_DEALLOC_VGPRS)
	s_endpgm
	.section	.rodata,"a",@progbits
	.p2align	6, 0x0
	.amdhsa_kernel _ZN9rocsparseL29bsrmmnt_small_blockdim_kernelILj64ELj32ELj2Ell21rocsparse_complex_numIdES2_S2_S2_EEv20rocsparse_direction_T3_S4_llNS_24const_host_device_scalarIT7_EEPKT2_PKS4_PKT4_PKT5_llS7_PT6_ll16rocsparse_order_21rocsparse_index_base_b
		.amdhsa_group_segment_fixed_size 3584
		.amdhsa_private_segment_fixed_size 0
		.amdhsa_kernarg_size 416
		.amdhsa_user_sgpr_count 2
		.amdhsa_user_sgpr_dispatch_ptr 0
		.amdhsa_user_sgpr_queue_ptr 0
		.amdhsa_user_sgpr_kernarg_segment_ptr 1
		.amdhsa_user_sgpr_dispatch_id 0
		.amdhsa_user_sgpr_kernarg_preload_length 0
		.amdhsa_user_sgpr_kernarg_preload_offset 0
		.amdhsa_user_sgpr_private_segment_size 0
		.amdhsa_wavefront_size32 1
		.amdhsa_uses_dynamic_stack 0
		.amdhsa_enable_private_segment 0
		.amdhsa_system_sgpr_workgroup_id_x 1
		.amdhsa_system_sgpr_workgroup_id_y 0
		.amdhsa_system_sgpr_workgroup_id_z 0
		.amdhsa_system_sgpr_workgroup_info 0
		.amdhsa_system_vgpr_workitem_id 0
		.amdhsa_next_free_vgpr 66
		.amdhsa_next_free_sgpr 27
		.amdhsa_named_barrier_count 0
		.amdhsa_reserve_vcc 1
		.amdhsa_float_round_mode_32 0
		.amdhsa_float_round_mode_16_64 0
		.amdhsa_float_denorm_mode_32 3
		.amdhsa_float_denorm_mode_16_64 3
		.amdhsa_fp16_overflow 0
		.amdhsa_memory_ordered 1
		.amdhsa_forward_progress 1
		.amdhsa_inst_pref_size 13
		.amdhsa_round_robin_scheduling 0
		.amdhsa_exception_fp_ieee_invalid_op 0
		.amdhsa_exception_fp_denorm_src 0
		.amdhsa_exception_fp_ieee_div_zero 0
		.amdhsa_exception_fp_ieee_overflow 0
		.amdhsa_exception_fp_ieee_underflow 0
		.amdhsa_exception_fp_ieee_inexact 0
		.amdhsa_exception_int_div_zero 0
	.end_amdhsa_kernel
	.section	.text._ZN9rocsparseL29bsrmmnt_small_blockdim_kernelILj64ELj32ELj2Ell21rocsparse_complex_numIdES2_S2_S2_EEv20rocsparse_direction_T3_S4_llNS_24const_host_device_scalarIT7_EEPKT2_PKS4_PKT4_PKT5_llS7_PT6_ll16rocsparse_order_21rocsparse_index_base_b,"axG",@progbits,_ZN9rocsparseL29bsrmmnt_small_blockdim_kernelILj64ELj32ELj2Ell21rocsparse_complex_numIdES2_S2_S2_EEv20rocsparse_direction_T3_S4_llNS_24const_host_device_scalarIT7_EEPKT2_PKS4_PKT4_PKT5_llS7_PT6_ll16rocsparse_order_21rocsparse_index_base_b,comdat
.Lfunc_end67:
	.size	_ZN9rocsparseL29bsrmmnt_small_blockdim_kernelILj64ELj32ELj2Ell21rocsparse_complex_numIdES2_S2_S2_EEv20rocsparse_direction_T3_S4_llNS_24const_host_device_scalarIT7_EEPKT2_PKS4_PKT4_PKT5_llS7_PT6_ll16rocsparse_order_21rocsparse_index_base_b, .Lfunc_end67-_ZN9rocsparseL29bsrmmnt_small_blockdim_kernelILj64ELj32ELj2Ell21rocsparse_complex_numIdES2_S2_S2_EEv20rocsparse_direction_T3_S4_llNS_24const_host_device_scalarIT7_EEPKT2_PKS4_PKT4_PKT5_llS7_PT6_ll16rocsparse_order_21rocsparse_index_base_b
                                        ; -- End function
	.set _ZN9rocsparseL29bsrmmnt_small_blockdim_kernelILj64ELj32ELj2Ell21rocsparse_complex_numIdES2_S2_S2_EEv20rocsparse_direction_T3_S4_llNS_24const_host_device_scalarIT7_EEPKT2_PKS4_PKT4_PKT5_llS7_PT6_ll16rocsparse_order_21rocsparse_index_base_b.num_vgpr, 66
	.set _ZN9rocsparseL29bsrmmnt_small_blockdim_kernelILj64ELj32ELj2Ell21rocsparse_complex_numIdES2_S2_S2_EEv20rocsparse_direction_T3_S4_llNS_24const_host_device_scalarIT7_EEPKT2_PKS4_PKT4_PKT5_llS7_PT6_ll16rocsparse_order_21rocsparse_index_base_b.num_agpr, 0
	.set _ZN9rocsparseL29bsrmmnt_small_blockdim_kernelILj64ELj32ELj2Ell21rocsparse_complex_numIdES2_S2_S2_EEv20rocsparse_direction_T3_S4_llNS_24const_host_device_scalarIT7_EEPKT2_PKS4_PKT4_PKT5_llS7_PT6_ll16rocsparse_order_21rocsparse_index_base_b.numbered_sgpr, 27
	.set _ZN9rocsparseL29bsrmmnt_small_blockdim_kernelILj64ELj32ELj2Ell21rocsparse_complex_numIdES2_S2_S2_EEv20rocsparse_direction_T3_S4_llNS_24const_host_device_scalarIT7_EEPKT2_PKS4_PKT4_PKT5_llS7_PT6_ll16rocsparse_order_21rocsparse_index_base_b.num_named_barrier, 0
	.set _ZN9rocsparseL29bsrmmnt_small_blockdim_kernelILj64ELj32ELj2Ell21rocsparse_complex_numIdES2_S2_S2_EEv20rocsparse_direction_T3_S4_llNS_24const_host_device_scalarIT7_EEPKT2_PKS4_PKT4_PKT5_llS7_PT6_ll16rocsparse_order_21rocsparse_index_base_b.private_seg_size, 0
	.set _ZN9rocsparseL29bsrmmnt_small_blockdim_kernelILj64ELj32ELj2Ell21rocsparse_complex_numIdES2_S2_S2_EEv20rocsparse_direction_T3_S4_llNS_24const_host_device_scalarIT7_EEPKT2_PKS4_PKT4_PKT5_llS7_PT6_ll16rocsparse_order_21rocsparse_index_base_b.uses_vcc, 1
	.set _ZN9rocsparseL29bsrmmnt_small_blockdim_kernelILj64ELj32ELj2Ell21rocsparse_complex_numIdES2_S2_S2_EEv20rocsparse_direction_T3_S4_llNS_24const_host_device_scalarIT7_EEPKT2_PKS4_PKT4_PKT5_llS7_PT6_ll16rocsparse_order_21rocsparse_index_base_b.uses_flat_scratch, 0
	.set _ZN9rocsparseL29bsrmmnt_small_blockdim_kernelILj64ELj32ELj2Ell21rocsparse_complex_numIdES2_S2_S2_EEv20rocsparse_direction_T3_S4_llNS_24const_host_device_scalarIT7_EEPKT2_PKS4_PKT4_PKT5_llS7_PT6_ll16rocsparse_order_21rocsparse_index_base_b.has_dyn_sized_stack, 0
	.set _ZN9rocsparseL29bsrmmnt_small_blockdim_kernelILj64ELj32ELj2Ell21rocsparse_complex_numIdES2_S2_S2_EEv20rocsparse_direction_T3_S4_llNS_24const_host_device_scalarIT7_EEPKT2_PKS4_PKT4_PKT5_llS7_PT6_ll16rocsparse_order_21rocsparse_index_base_b.has_recursion, 0
	.set _ZN9rocsparseL29bsrmmnt_small_blockdim_kernelILj64ELj32ELj2Ell21rocsparse_complex_numIdES2_S2_S2_EEv20rocsparse_direction_T3_S4_llNS_24const_host_device_scalarIT7_EEPKT2_PKS4_PKT4_PKT5_llS7_PT6_ll16rocsparse_order_21rocsparse_index_base_b.has_indirect_call, 0
	.section	.AMDGPU.csdata,"",@progbits
; Kernel info:
; codeLenInByte = 1624
; TotalNumSgprs: 29
; NumVgprs: 66
; ScratchSize: 0
; MemoryBound: 0
; FloatMode: 240
; IeeeMode: 1
; LDSByteSize: 3584 bytes/workgroup (compile time only)
; SGPRBlocks: 0
; VGPRBlocks: 4
; NumSGPRsForWavesPerEU: 29
; NumVGPRsForWavesPerEU: 66
; NamedBarCnt: 0
; Occupancy: 12
; WaveLimiterHint : 1
; COMPUTE_PGM_RSRC2:SCRATCH_EN: 0
; COMPUTE_PGM_RSRC2:USER_SGPR: 2
; COMPUTE_PGM_RSRC2:TRAP_HANDLER: 0
; COMPUTE_PGM_RSRC2:TGID_X_EN: 1
; COMPUTE_PGM_RSRC2:TGID_Y_EN: 0
; COMPUTE_PGM_RSRC2:TGID_Z_EN: 0
; COMPUTE_PGM_RSRC2:TIDIG_COMP_CNT: 0
	.section	.text._ZN9rocsparseL29bsrmmnt_small_blockdim_kernelILj64ELj64ELj2Ell21rocsparse_complex_numIdES2_S2_S2_EEv20rocsparse_direction_T3_S4_llNS_24const_host_device_scalarIT7_EEPKT2_PKS4_PKT4_PKT5_llS7_PT6_ll16rocsparse_order_21rocsparse_index_base_b,"axG",@progbits,_ZN9rocsparseL29bsrmmnt_small_blockdim_kernelILj64ELj64ELj2Ell21rocsparse_complex_numIdES2_S2_S2_EEv20rocsparse_direction_T3_S4_llNS_24const_host_device_scalarIT7_EEPKT2_PKS4_PKT4_PKT5_llS7_PT6_ll16rocsparse_order_21rocsparse_index_base_b,comdat
	.globl	_ZN9rocsparseL29bsrmmnt_small_blockdim_kernelILj64ELj64ELj2Ell21rocsparse_complex_numIdES2_S2_S2_EEv20rocsparse_direction_T3_S4_llNS_24const_host_device_scalarIT7_EEPKT2_PKS4_PKT4_PKT5_llS7_PT6_ll16rocsparse_order_21rocsparse_index_base_b ; -- Begin function _ZN9rocsparseL29bsrmmnt_small_blockdim_kernelILj64ELj64ELj2Ell21rocsparse_complex_numIdES2_S2_S2_EEv20rocsparse_direction_T3_S4_llNS_24const_host_device_scalarIT7_EEPKT2_PKS4_PKT4_PKT5_llS7_PT6_ll16rocsparse_order_21rocsparse_index_base_b
	.p2align	8
	.type	_ZN9rocsparseL29bsrmmnt_small_blockdim_kernelILj64ELj64ELj2Ell21rocsparse_complex_numIdES2_S2_S2_EEv20rocsparse_direction_T3_S4_llNS_24const_host_device_scalarIT7_EEPKT2_PKS4_PKT4_PKT5_llS7_PT6_ll16rocsparse_order_21rocsparse_index_base_b,@function
_ZN9rocsparseL29bsrmmnt_small_blockdim_kernelILj64ELj64ELj2Ell21rocsparse_complex_numIdES2_S2_S2_EEv20rocsparse_direction_T3_S4_llNS_24const_host_device_scalarIT7_EEPKT2_PKS4_PKT4_PKT5_llS7_PT6_ll16rocsparse_order_21rocsparse_index_base_b: ; @_ZN9rocsparseL29bsrmmnt_small_blockdim_kernelILj64ELj64ELj2Ell21rocsparse_complex_numIdES2_S2_S2_EEv20rocsparse_direction_T3_S4_llNS_24const_host_device_scalarIT7_EEPKT2_PKS4_PKT4_PKT5_llS7_PT6_ll16rocsparse_order_21rocsparse_index_base_b
; %bb.0:
	s_clause 0x1
	s_load_b96 s[20:22], s[0:1], 0x90
	s_load_b64 s[2:3], s[0:1], 0x28
	v_mov_b32_e32 v1, 0
	s_add_nc_u64 s[4:5], s[0:1], 40
	s_load_b64 s[6:7], s[0:1], 0x68
	s_wait_kmcnt 0x0
	s_bitcmp1_b32 s22, 0
	s_cselect_b32 s3, s5, s3
	s_cselect_b32 s2, s4, s2
	flat_load_b128 v[2:5], v1, s[2:3]
	s_wait_xcnt 0x0
	s_add_nc_u64 s[2:3], s[0:1], 0x68
	s_delay_alu instid0(SALU_CYCLE_1)
	s_cselect_b32 s3, s3, s7
	s_cselect_b32 s2, s2, s6
	flat_load_b128 v[6:9], v1, s[2:3]
	s_wait_loadcnt_dscnt 0x101
	v_cmp_eq_f64_e32 vcc_lo, 0, v[2:3]
	s_wait_xcnt 0x0
	v_cmp_eq_f64_e64 s2, 0, v[4:5]
	s_and_b32 s4, vcc_lo, s2
	s_mov_b32 s2, -1
	s_and_saveexec_b32 s3, s4
	s_cbranch_execz .LBB68_2
; %bb.1:
	s_wait_loadcnt_dscnt 0x0
	v_cmp_neq_f64_e32 vcc_lo, 1.0, v[6:7]
	v_cmp_neq_f64_e64 s2, 0, v[8:9]
	s_or_b32 s2, vcc_lo, s2
	s_delay_alu instid0(SALU_CYCLE_1)
	s_or_not1_b32 s2, s2, exec_lo
.LBB68_2:
	s_or_b32 exec_lo, exec_lo, s3
	s_and_saveexec_b32 s3, s2
	s_cbranch_execz .LBB68_29
; %bb.3:
	s_clause 0x1
	s_load_b32 s2, s[0:1], 0xac
	s_load_b128 s[12:15], s[0:1], 0x8
	s_bfe_u32 s3, ttmp6, 0x4000c
	s_and_b32 s4, ttmp6, 15
	s_add_co_i32 s3, s3, 1
	s_getreg_b32 s5, hwreg(HW_REG_IB_STS2, 6, 4)
	s_mul_i32 s3, ttmp9, s3
	s_delay_alu instid0(SALU_CYCLE_1) | instskip(SKIP_4) | instid1(SALU_CYCLE_1)
	s_add_co_i32 s4, s4, s3
	s_wait_kmcnt 0x0
	s_and_b32 s2, s2, 0xffff
	s_cmp_eq_u32 s5, 0
	s_cselect_b32 s3, ttmp9, s4
	v_mad_u32 v1, s3, s2, v0
	s_delay_alu instid0(VALU_DEP_1) | instskip(NEXT) | instid1(VALU_DEP_1)
	v_dual_mov_b32 v11, 0 :: v_dual_lshrrev_b32 v10, 7, v1
	v_cmp_gt_i64_e32 vcc_lo, s[12:13], v[10:11]
	s_and_b32 exec_lo, exec_lo, vcc_lo
	s_cbranch_execz .LBB68_29
; %bb.4:
	v_cmp_lt_i64_e64 s2, s[14:15], 1
	s_and_b32 vcc_lo, exec_lo, s2
	s_cbranch_vccnz .LBB68_29
; %bb.5:
	s_load_b256 s[4:11], s[0:1], 0x38
	v_dual_lshlrev_b32 v10, 3, v10 :: v_dual_lshrrev_b32 v14, 6, v1
	s_load_b128 s[16:19], s[0:1], 0x78
	s_wait_loadcnt_dscnt 0x0
	v_cmp_neq_f64_e32 vcc_lo, 0, v[6:7]
	v_cmp_neq_f64_e64 s2, 0, v[8:9]
	v_dual_mov_b32 v15, 0 :: v_dual_lshlrev_b32 v18, 4, v14
	v_mov_b64_e32 v[28:29], 0
	v_lshl_or_b32 v42, v0, 3, 0xc00
	v_mul_u32_u24_e32 v43, 48, v0
	s_delay_alu instid0(VALU_DEP_4)
	v_dual_mov_b32 v21, v15 :: v_dual_bitop2_b32 v20, 16, v18 bitop3:0x40
	v_dual_mov_b32 v19, v15 :: v_dual_mov_b32 v1, v15
	s_mov_b64 s[12:13], 0
	s_wait_kmcnt 0x0
	global_load_b128 v[10:13], v10, s[4:5]
	s_wait_xcnt 0x0
	s_load_b64 s[4:5], s[0:1], 0x58
	v_add_nc_u64_e32 v[22:23], s[8:9], v[20:21]
	v_mul_u64_e32 v[16:17], s[18:19], v[14:15]
	s_wait_xcnt 0x0
	s_load_b32 s0, s[0:1], 0x0
	s_mov_b32 s9, 0
	s_mov_b32 s8, s21
	v_add_nc_u64_e32 v[18:19], s[16:17], v[18:19]
	s_mov_b32 s3, s9
	v_add_nc_u64_e32 v[20:21], v[22:23], v[20:21]
	s_or_b32 s22, vcc_lo, s2
	s_cmp_lg_u32 s20, 1
	s_cselect_b32 s23, -1, 0
	s_wait_kmcnt 0x0
	s_cmp_eq_u32 s0, 0
	s_cselect_b32 vcc_lo, -1, 0
	s_delay_alu instid0(SALU_CYCLE_1) | instskip(SKIP_2) | instid1(VALU_DEP_4)
	s_and_b32 s0, vcc_lo, exec_lo
	v_dual_cndmask_b32 v21, v23, v21 :: v_dual_cndmask_b32 v20, v22, v20
	s_cselect_b32 s2, 24, 40
	v_lshl_add_u64 v[22:23], v[16:17], 4, s[16:17]
	s_cselect_b32 s16, 16, 32
	s_mov_b32 s17, s9
	s_lshl_b64 s[20:21], s[4:5], 4
	s_wait_loadcnt 0x0
	v_sub_nc_u64_e64 v[24:25], v[10:11], s[8:9]
	v_sub_nc_u64_e64 v[26:27], v[12:13], s[8:9]
	v_cmp_lt_i64_e64 s0, v[10:11], v[12:13]
	s_branch .LBB68_7
.LBB68_6:                               ;   in Loop: Header=BB68_7 Depth=1
	s_wait_xcnt 0x0
	s_or_b32 exec_lo, exec_lo, s1
	s_add_nc_u64 s[12:13], s[12:13], 64
	s_delay_alu instid0(SALU_CYCLE_1)
	v_cmp_lt_i64_e64 s1, s[12:13], s[14:15]
	s_and_b32 vcc_lo, exec_lo, s1
	s_cbranch_vccz .LBB68_29
.LBB68_7:                               ; =>This Loop Header: Depth=1
                                        ;     Child Loop BB68_10 Depth 2
                                        ;       Child Loop BB68_16 Depth 3
	v_mov_b64_e32 v[32:33], 0
	v_mov_b64_e32 v[34:35], 0
	v_dual_mov_b32 v31, s13 :: v_dual_bitop2_b32 v30, s12, v0 bitop3:0x54
	s_delay_alu instid0(VALU_DEP_4)
	s_and_saveexec_b32 s24, s0
	s_cbranch_execz .LBB68_18
; %bb.8:                                ;   in Loop: Header=BB68_7 Depth=1
	v_mov_b64_e32 v[32:33], 0
	v_mov_b64_e32 v[34:35], 0
	;; [unrolled: 1-line block ×3, first 2 shown]
	v_lshl_add_u64 v[36:37], v[30:31], 4, s[10:11]
	s_mov_b32 s25, 0
	v_cmp_gt_i64_e32 vcc_lo, s[14:15], v[30:31]
	s_branch .LBB68_10
.LBB68_9:                               ;   in Loop: Header=BB68_10 Depth=2
	s_or_b32 exec_lo, exec_lo, s1
	v_add_nc_u64_e32 v[38:39], 64, v[38:39]
	s_delay_alu instid0(VALU_DEP_1) | instskip(SKIP_1) | instid1(SALU_CYCLE_1)
	v_cmp_ge_i64_e64 s1, v[38:39], v[26:27]
	s_or_b32 s25, s1, s25
	s_and_not1_b32 exec_lo, exec_lo, s25
	s_cbranch_execz .LBB68_17
.LBB68_10:                              ;   Parent Loop BB68_7 Depth=1
                                        ; =>  This Loop Header: Depth=2
                                        ;       Child Loop BB68_16 Depth 3
	s_delay_alu instid0(VALU_DEP_3) | instskip(NEXT) | instid1(VALU_DEP_1)
	v_add_nc_u64_e32 v[40:41], v[38:39], v[0:1]
	v_cmp_ge_i64_e64 s1, v[40:41], v[26:27]
	s_and_saveexec_b32 s26, s1
	s_delay_alu instid0(SALU_CYCLE_1)
	s_xor_b32 s1, exec_lo, s26
; %bb.11:                               ;   in Loop: Header=BB68_10 Depth=2
	ds_store_b64 v42, v[28:29]
                                        ; implicit-def: $vgpr40_vgpr41
; %bb.12:                               ;   in Loop: Header=BB68_10 Depth=2
	s_or_saveexec_b32 s1, s1
	v_mov_b64_e32 v[14:15], 0
	v_mov_b64_e32 v[16:17], 0
	;; [unrolled: 1-line block ×4, first 2 shown]
	s_xor_b32 exec_lo, exec_lo, s1
	s_cbranch_execz .LBB68_14
; %bb.13:                               ;   in Loop: Header=BB68_10 Depth=2
	v_lshlrev_b64_e32 v[10:11], 6, v[40:41]
	v_lshl_add_u64 v[12:13], v[40:41], 3, s[6:7]
	global_load_b64 v[44:45], v[12:13], off
	v_add_nc_u64_e32 v[40:41], v[20:21], v[10:11]
	s_delay_alu instid0(VALU_DEP_1)
	v_add_nc_u64_e32 v[46:47], s[16:17], v[40:41]
	v_add_nc_u64_e32 v[48:49], s[2:3], v[40:41]
	s_clause 0x2
	global_load_b64 v[10:11], v[46:47], off
	global_load_b128 v[14:17], v[40:41], off
	global_load_b64 v[12:13], v[48:49], off
	s_wait_loadcnt 0x3
	s_wait_xcnt 0x1
	v_sub_nc_u64_e64 v[40:41], v[44:45], s[8:9]
	s_delay_alu instid0(VALU_DEP_1)
	v_lshlrev_b64_e32 v[40:41], 1, v[40:41]
	ds_store_b64 v42, v[40:41]
.LBB68_14:                              ;   in Loop: Header=BB68_10 Depth=2
	s_wait_xcnt 0x0
	s_or_b32 exec_lo, exec_lo, s1
	s_wait_loadcnt 0x1
	ds_store_b128 v43, v[14:17]
	s_wait_loadcnt 0x0
	ds_store_b128 v43, v[10:13] offset:16
	s_wait_dscnt 0x0
	s_barrier_signal -1
	s_barrier_wait -1
	s_and_saveexec_b32 s1, vcc_lo
	s_cbranch_execz .LBB68_9
; %bb.15:                               ;   in Loop: Header=BB68_10 Depth=2
	v_mov_b32_e32 v10, 0
	s_mov_b32 s26, 0
.LBB68_16:                              ;   Parent Loop BB68_7 Depth=1
                                        ;     Parent Loop BB68_10 Depth=2
                                        ; =>    This Inner Loop Header: Depth=3
	s_delay_alu instid0(SALU_CYCLE_1) | instskip(SKIP_1) | instid1(SALU_CYCLE_1)
	v_add_nc_u32_e64 v11, 0xc00, s26
	s_add_co_i32 s26, s26, 16
	s_cmp_lg_u32 s26, 0x200
	ds_load_b128 v[12:15], v11
	s_wait_dscnt 0x0
	v_mul_u64_e32 v[12:13], s[4:5], v[12:13]
	s_delay_alu instid0(VALU_DEP_1)
	v_lshl_add_u64 v[12:13], v[12:13], 4, v[36:37]
	global_load_b128 v[44:47], v[12:13], off
	s_wait_xcnt 0x0
	v_add_nc_u64_e32 v[12:13], s[20:21], v[12:13]
	global_load_b128 v[48:51], v[12:13], off
	s_wait_xcnt 0x0
	v_mul_u64_e32 v[12:13], s[4:5], v[14:15]
	s_delay_alu instid0(VALU_DEP_1)
	v_lshl_add_u64 v[16:17], v[12:13], 4, v[36:37]
	global_load_b128 v[12:15], v[16:17], off
	s_wait_xcnt 0x0
	v_add_nc_u64_e32 v[16:17], s[20:21], v[16:17]
	global_load_b128 v[52:55], v[16:17], off
	ds_load_b128 v[56:59], v10
	ds_load_b128 v[60:63], v10 offset:16
	s_wait_loadcnt_dscnt 0x301
	v_fmac_f64_e32 v[34:35], v[56:57], v[44:45]
	v_fmac_f64_e32 v[32:33], v[58:59], v[44:45]
	s_wait_xcnt 0x0
	s_delay_alu instid0(VALU_DEP_2) | instskip(NEXT) | instid1(VALU_DEP_2)
	v_fma_f64 v[16:17], -v[58:59], v[46:47], v[34:35]
	v_fmac_f64_e32 v[32:33], v[56:57], v[46:47]
	s_wait_loadcnt_dscnt 0x200
	s_delay_alu instid0(VALU_DEP_2) | instskip(NEXT) | instid1(VALU_DEP_2)
	v_fmac_f64_e32 v[16:17], v[60:61], v[48:49]
	v_fmac_f64_e32 v[32:33], v[62:63], v[48:49]
	s_delay_alu instid0(VALU_DEP_2) | instskip(NEXT) | instid1(VALU_DEP_2)
	v_fma_f64 v[16:17], -v[62:63], v[50:51], v[16:17]
	v_fmac_f64_e32 v[32:33], v[60:61], v[50:51]
	ds_load_b128 v[44:47], v10 offset:48
	ds_load_b128 v[48:51], v10 offset:64
	v_add_nc_u32_e32 v10, 0x60, v10
	s_wait_loadcnt_dscnt 0x101
	v_fmac_f64_e32 v[16:17], v[44:45], v[12:13]
	v_fmac_f64_e32 v[32:33], v[46:47], v[12:13]
	s_delay_alu instid0(VALU_DEP_2) | instskip(NEXT) | instid1(VALU_DEP_2)
	v_fma_f64 v[12:13], -v[46:47], v[14:15], v[16:17]
	v_fmac_f64_e32 v[32:33], v[44:45], v[14:15]
	s_wait_loadcnt_dscnt 0x0
	s_delay_alu instid0(VALU_DEP_2) | instskip(NEXT) | instid1(VALU_DEP_2)
	v_fmac_f64_e32 v[12:13], v[48:49], v[52:53]
	v_fmac_f64_e32 v[32:33], v[50:51], v[52:53]
	s_delay_alu instid0(VALU_DEP_2) | instskip(NEXT) | instid1(VALU_DEP_2)
	v_fma_f64 v[34:35], -v[50:51], v[54:55], v[12:13]
	v_fmac_f64_e32 v[32:33], v[48:49], v[54:55]
	s_cbranch_scc1 .LBB68_16
	s_branch .LBB68_9
.LBB68_17:                              ;   in Loop: Header=BB68_7 Depth=1
	s_or_b32 exec_lo, exec_lo, s25
.LBB68_18:                              ;   in Loop: Header=BB68_7 Depth=1
	s_delay_alu instid0(SALU_CYCLE_1) | instskip(NEXT) | instid1(SALU_CYCLE_1)
	s_or_b32 exec_lo, exec_lo, s24
	s_mov_b32 s1, exec_lo
	v_cmpx_gt_i64_e64 s[14:15], v[30:31]
	s_cbranch_execz .LBB68_6
; %bb.19:                               ;   in Loop: Header=BB68_7 Depth=1
	s_and_saveexec_b32 s24, s22
	s_delay_alu instid0(SALU_CYCLE_1)
	s_xor_b32 s24, exec_lo, s24
	s_cbranch_execz .LBB68_24
; %bb.20:                               ;   in Loop: Header=BB68_7 Depth=1
	s_and_b32 vcc_lo, exec_lo, s23
	s_mov_b32 s25, -1
	s_cbranch_vccz .LBB68_22
; %bb.21:                               ;   in Loop: Header=BB68_7 Depth=1
	v_lshl_add_u64 v[36:37], v[30:31], 4, v[22:23]
	v_mul_f64_e64 v[14:15], v[32:33], -v[4:5]
	v_mul_f64_e32 v[16:17], v[2:3], v[32:33]
	s_mov_b32 s25, 0
	global_load_b128 v[10:13], v[36:37], off
	v_fmac_f64_e32 v[14:15], v[2:3], v[34:35]
	v_fmac_f64_e32 v[16:17], v[4:5], v[34:35]
	s_wait_loadcnt 0x0
	s_delay_alu instid0(VALU_DEP_2) | instskip(NEXT) | instid1(VALU_DEP_2)
	v_fmac_f64_e32 v[14:15], v[6:7], v[10:11]
	v_fmac_f64_e32 v[16:17], v[8:9], v[10:11]
	s_delay_alu instid0(VALU_DEP_2) | instskip(NEXT) | instid1(VALU_DEP_2)
	v_fma_f64 v[14:15], -v[8:9], v[12:13], v[14:15]
	v_fmac_f64_e32 v[16:17], v[6:7], v[12:13]
	global_store_b128 v[36:37], v[14:17], off
.LBB68_22:                              ;   in Loop: Header=BB68_7 Depth=1
	s_and_not1_b32 vcc_lo, exec_lo, s25
	s_cbranch_vccnz .LBB68_24
; %bb.23:                               ;   in Loop: Header=BB68_7 Depth=1
	v_mul_u64_e32 v[10:11], s[18:19], v[30:31]
	s_wait_xcnt 0x0
	v_mul_f64_e64 v[14:15], v[32:33], -v[4:5]
	v_mul_f64_e32 v[16:17], v[2:3], v[32:33]
                                        ; implicit-def: $vgpr32_vgpr33
	s_delay_alu instid0(VALU_DEP_3) | instskip(NEXT) | instid1(VALU_DEP_3)
	v_lshl_add_u64 v[30:31], v[10:11], 4, v[18:19]
	v_fmac_f64_e32 v[14:15], v[2:3], v[34:35]
	s_delay_alu instid0(VALU_DEP_3) | instskip(SKIP_4) | instid1(VALU_DEP_2)
	v_fmac_f64_e32 v[16:17], v[4:5], v[34:35]
                                        ; implicit-def: $vgpr34_vgpr35
	global_load_b128 v[10:13], v[30:31], off
	s_wait_loadcnt 0x0
	v_fmac_f64_e32 v[14:15], v[6:7], v[10:11]
	v_fmac_f64_e32 v[16:17], v[8:9], v[10:11]
	v_fma_f64 v[14:15], -v[8:9], v[12:13], v[14:15]
	s_delay_alu instid0(VALU_DEP_2)
	v_fmac_f64_e32 v[16:17], v[6:7], v[12:13]
	global_store_b128 v[30:31], v[14:17], off
                                        ; implicit-def: $vgpr30_vgpr31
.LBB68_24:                              ;   in Loop: Header=BB68_7 Depth=1
	s_wait_xcnt 0x0
	s_and_not1_saveexec_b32 s24, s24
	s_cbranch_execz .LBB68_6
; %bb.25:                               ;   in Loop: Header=BB68_7 Depth=1
	v_mul_f64_e64 v[10:11], v[32:33], -v[4:5]
	v_mul_f64_e32 v[12:13], v[2:3], v[32:33]
	s_and_b32 vcc_lo, exec_lo, s23
	s_mov_b32 s24, -1
	s_delay_alu instid0(VALU_DEP_2) | instskip(NEXT) | instid1(VALU_DEP_2)
	v_fmac_f64_e32 v[10:11], v[2:3], v[34:35]
	v_fmac_f64_e32 v[12:13], v[4:5], v[34:35]
	s_cbranch_vccz .LBB68_27
; %bb.26:                               ;   in Loop: Header=BB68_7 Depth=1
	v_lshl_add_u64 v[14:15], v[30:31], 4, v[22:23]
	s_mov_b32 s24, 0
	global_store_b128 v[14:15], v[10:13], off
.LBB68_27:                              ;   in Loop: Header=BB68_7 Depth=1
	s_and_not1_b32 vcc_lo, exec_lo, s24
	s_cbranch_vccnz .LBB68_6
; %bb.28:                               ;   in Loop: Header=BB68_7 Depth=1
	s_wait_xcnt 0x0
	v_mul_u64_e32 v[14:15], s[18:19], v[30:31]
	s_delay_alu instid0(VALU_DEP_1)
	v_lshl_add_u64 v[14:15], v[14:15], 4, v[18:19]
	global_store_b128 v[14:15], v[10:13], off
	s_branch .LBB68_6
.LBB68_29:
	s_endpgm
	.section	.rodata,"a",@progbits
	.p2align	6, 0x0
	.amdhsa_kernel _ZN9rocsparseL29bsrmmnt_small_blockdim_kernelILj64ELj64ELj2Ell21rocsparse_complex_numIdES2_S2_S2_EEv20rocsparse_direction_T3_S4_llNS_24const_host_device_scalarIT7_EEPKT2_PKS4_PKT4_PKT5_llS7_PT6_ll16rocsparse_order_21rocsparse_index_base_b
		.amdhsa_group_segment_fixed_size 3584
		.amdhsa_private_segment_fixed_size 0
		.amdhsa_kernarg_size 416
		.amdhsa_user_sgpr_count 2
		.amdhsa_user_sgpr_dispatch_ptr 0
		.amdhsa_user_sgpr_queue_ptr 0
		.amdhsa_user_sgpr_kernarg_segment_ptr 1
		.amdhsa_user_sgpr_dispatch_id 0
		.amdhsa_user_sgpr_kernarg_preload_length 0
		.amdhsa_user_sgpr_kernarg_preload_offset 0
		.amdhsa_user_sgpr_private_segment_size 0
		.amdhsa_wavefront_size32 1
		.amdhsa_uses_dynamic_stack 0
		.amdhsa_enable_private_segment 0
		.amdhsa_system_sgpr_workgroup_id_x 1
		.amdhsa_system_sgpr_workgroup_id_y 0
		.amdhsa_system_sgpr_workgroup_id_z 0
		.amdhsa_system_sgpr_workgroup_info 0
		.amdhsa_system_vgpr_workitem_id 0
		.amdhsa_next_free_vgpr 64
		.amdhsa_next_free_sgpr 27
		.amdhsa_named_barrier_count 0
		.amdhsa_reserve_vcc 1
		.amdhsa_float_round_mode_32 0
		.amdhsa_float_round_mode_16_64 0
		.amdhsa_float_denorm_mode_32 3
		.amdhsa_float_denorm_mode_16_64 3
		.amdhsa_fp16_overflow 0
		.amdhsa_memory_ordered 1
		.amdhsa_forward_progress 1
		.amdhsa_inst_pref_size 13
		.amdhsa_round_robin_scheduling 0
		.amdhsa_exception_fp_ieee_invalid_op 0
		.amdhsa_exception_fp_denorm_src 0
		.amdhsa_exception_fp_ieee_div_zero 0
		.amdhsa_exception_fp_ieee_overflow 0
		.amdhsa_exception_fp_ieee_underflow 0
		.amdhsa_exception_fp_ieee_inexact 0
		.amdhsa_exception_int_div_zero 0
	.end_amdhsa_kernel
	.section	.text._ZN9rocsparseL29bsrmmnt_small_blockdim_kernelILj64ELj64ELj2Ell21rocsparse_complex_numIdES2_S2_S2_EEv20rocsparse_direction_T3_S4_llNS_24const_host_device_scalarIT7_EEPKT2_PKS4_PKT4_PKT5_llS7_PT6_ll16rocsparse_order_21rocsparse_index_base_b,"axG",@progbits,_ZN9rocsparseL29bsrmmnt_small_blockdim_kernelILj64ELj64ELj2Ell21rocsparse_complex_numIdES2_S2_S2_EEv20rocsparse_direction_T3_S4_llNS_24const_host_device_scalarIT7_EEPKT2_PKS4_PKT4_PKT5_llS7_PT6_ll16rocsparse_order_21rocsparse_index_base_b,comdat
.Lfunc_end68:
	.size	_ZN9rocsparseL29bsrmmnt_small_blockdim_kernelILj64ELj64ELj2Ell21rocsparse_complex_numIdES2_S2_S2_EEv20rocsparse_direction_T3_S4_llNS_24const_host_device_scalarIT7_EEPKT2_PKS4_PKT4_PKT5_llS7_PT6_ll16rocsparse_order_21rocsparse_index_base_b, .Lfunc_end68-_ZN9rocsparseL29bsrmmnt_small_blockdim_kernelILj64ELj64ELj2Ell21rocsparse_complex_numIdES2_S2_S2_EEv20rocsparse_direction_T3_S4_llNS_24const_host_device_scalarIT7_EEPKT2_PKS4_PKT4_PKT5_llS7_PT6_ll16rocsparse_order_21rocsparse_index_base_b
                                        ; -- End function
	.set _ZN9rocsparseL29bsrmmnt_small_blockdim_kernelILj64ELj64ELj2Ell21rocsparse_complex_numIdES2_S2_S2_EEv20rocsparse_direction_T3_S4_llNS_24const_host_device_scalarIT7_EEPKT2_PKS4_PKT4_PKT5_llS7_PT6_ll16rocsparse_order_21rocsparse_index_base_b.num_vgpr, 64
	.set _ZN9rocsparseL29bsrmmnt_small_blockdim_kernelILj64ELj64ELj2Ell21rocsparse_complex_numIdES2_S2_S2_EEv20rocsparse_direction_T3_S4_llNS_24const_host_device_scalarIT7_EEPKT2_PKS4_PKT4_PKT5_llS7_PT6_ll16rocsparse_order_21rocsparse_index_base_b.num_agpr, 0
	.set _ZN9rocsparseL29bsrmmnt_small_blockdim_kernelILj64ELj64ELj2Ell21rocsparse_complex_numIdES2_S2_S2_EEv20rocsparse_direction_T3_S4_llNS_24const_host_device_scalarIT7_EEPKT2_PKS4_PKT4_PKT5_llS7_PT6_ll16rocsparse_order_21rocsparse_index_base_b.numbered_sgpr, 27
	.set _ZN9rocsparseL29bsrmmnt_small_blockdim_kernelILj64ELj64ELj2Ell21rocsparse_complex_numIdES2_S2_S2_EEv20rocsparse_direction_T3_S4_llNS_24const_host_device_scalarIT7_EEPKT2_PKS4_PKT4_PKT5_llS7_PT6_ll16rocsparse_order_21rocsparse_index_base_b.num_named_barrier, 0
	.set _ZN9rocsparseL29bsrmmnt_small_blockdim_kernelILj64ELj64ELj2Ell21rocsparse_complex_numIdES2_S2_S2_EEv20rocsparse_direction_T3_S4_llNS_24const_host_device_scalarIT7_EEPKT2_PKS4_PKT4_PKT5_llS7_PT6_ll16rocsparse_order_21rocsparse_index_base_b.private_seg_size, 0
	.set _ZN9rocsparseL29bsrmmnt_small_blockdim_kernelILj64ELj64ELj2Ell21rocsparse_complex_numIdES2_S2_S2_EEv20rocsparse_direction_T3_S4_llNS_24const_host_device_scalarIT7_EEPKT2_PKS4_PKT4_PKT5_llS7_PT6_ll16rocsparse_order_21rocsparse_index_base_b.uses_vcc, 1
	.set _ZN9rocsparseL29bsrmmnt_small_blockdim_kernelILj64ELj64ELj2Ell21rocsparse_complex_numIdES2_S2_S2_EEv20rocsparse_direction_T3_S4_llNS_24const_host_device_scalarIT7_EEPKT2_PKS4_PKT4_PKT5_llS7_PT6_ll16rocsparse_order_21rocsparse_index_base_b.uses_flat_scratch, 0
	.set _ZN9rocsparseL29bsrmmnt_small_blockdim_kernelILj64ELj64ELj2Ell21rocsparse_complex_numIdES2_S2_S2_EEv20rocsparse_direction_T3_S4_llNS_24const_host_device_scalarIT7_EEPKT2_PKS4_PKT4_PKT5_llS7_PT6_ll16rocsparse_order_21rocsparse_index_base_b.has_dyn_sized_stack, 0
	.set _ZN9rocsparseL29bsrmmnt_small_blockdim_kernelILj64ELj64ELj2Ell21rocsparse_complex_numIdES2_S2_S2_EEv20rocsparse_direction_T3_S4_llNS_24const_host_device_scalarIT7_EEPKT2_PKS4_PKT4_PKT5_llS7_PT6_ll16rocsparse_order_21rocsparse_index_base_b.has_recursion, 0
	.set _ZN9rocsparseL29bsrmmnt_small_blockdim_kernelILj64ELj64ELj2Ell21rocsparse_complex_numIdES2_S2_S2_EEv20rocsparse_direction_T3_S4_llNS_24const_host_device_scalarIT7_EEPKT2_PKS4_PKT4_PKT5_llS7_PT6_ll16rocsparse_order_21rocsparse_index_base_b.has_indirect_call, 0
	.section	.AMDGPU.csdata,"",@progbits
; Kernel info:
; codeLenInByte = 1608
; TotalNumSgprs: 29
; NumVgprs: 64
; ScratchSize: 0
; MemoryBound: 0
; FloatMode: 240
; IeeeMode: 1
; LDSByteSize: 3584 bytes/workgroup (compile time only)
; SGPRBlocks: 0
; VGPRBlocks: 3
; NumSGPRsForWavesPerEU: 29
; NumVGPRsForWavesPerEU: 64
; NamedBarCnt: 0
; Occupancy: 16
; WaveLimiterHint : 1
; COMPUTE_PGM_RSRC2:SCRATCH_EN: 0
; COMPUTE_PGM_RSRC2:USER_SGPR: 2
; COMPUTE_PGM_RSRC2:TRAP_HANDLER: 0
; COMPUTE_PGM_RSRC2:TGID_X_EN: 1
; COMPUTE_PGM_RSRC2:TGID_Y_EN: 0
; COMPUTE_PGM_RSRC2:TGID_Z_EN: 0
; COMPUTE_PGM_RSRC2:TIDIG_COMP_CNT: 0
	.section	.text._ZN9rocsparseL29bsrmmnt_small_blockdim_kernelILj64ELj8ELj2EiiDF16_DF16_ffEEv20rocsparse_direction_T3_S2_llNS_24const_host_device_scalarIT7_EEPKT2_PKS2_PKT4_PKT5_llS5_PT6_ll16rocsparse_order_21rocsparse_index_base_b,"axG",@progbits,_ZN9rocsparseL29bsrmmnt_small_blockdim_kernelILj64ELj8ELj2EiiDF16_DF16_ffEEv20rocsparse_direction_T3_S2_llNS_24const_host_device_scalarIT7_EEPKT2_PKS2_PKT4_PKT5_llS5_PT6_ll16rocsparse_order_21rocsparse_index_base_b,comdat
	.globl	_ZN9rocsparseL29bsrmmnt_small_blockdim_kernelILj64ELj8ELj2EiiDF16_DF16_ffEEv20rocsparse_direction_T3_S2_llNS_24const_host_device_scalarIT7_EEPKT2_PKS2_PKT4_PKT5_llS5_PT6_ll16rocsparse_order_21rocsparse_index_base_b ; -- Begin function _ZN9rocsparseL29bsrmmnt_small_blockdim_kernelILj64ELj8ELj2EiiDF16_DF16_ffEEv20rocsparse_direction_T3_S2_llNS_24const_host_device_scalarIT7_EEPKT2_PKS2_PKT4_PKT5_llS5_PT6_ll16rocsparse_order_21rocsparse_index_base_b
	.p2align	8
	.type	_ZN9rocsparseL29bsrmmnt_small_blockdim_kernelILj64ELj8ELj2EiiDF16_DF16_ffEEv20rocsparse_direction_T3_S2_llNS_24const_host_device_scalarIT7_EEPKT2_PKS2_PKT4_PKT5_llS5_PT6_ll16rocsparse_order_21rocsparse_index_base_b,@function
_ZN9rocsparseL29bsrmmnt_small_blockdim_kernelILj64ELj8ELj2EiiDF16_DF16_ffEEv20rocsparse_direction_T3_S2_llNS_24const_host_device_scalarIT7_EEPKT2_PKS2_PKT4_PKT5_llS5_PT6_ll16rocsparse_order_21rocsparse_index_base_b: ; @_ZN9rocsparseL29bsrmmnt_small_blockdim_kernelILj64ELj8ELj2EiiDF16_DF16_ffEEv20rocsparse_direction_T3_S2_llNS_24const_host_device_scalarIT7_EEPKT2_PKS2_PKT4_PKT5_llS5_PT6_ll16rocsparse_order_21rocsparse_index_base_b
; %bb.0:
	s_clause 0x2
	s_load_b96 s[16:18], s[0:1], 0x78
	s_load_b64 s[2:3], s[0:1], 0x20
	s_load_b64 s[24:25], s[0:1], 0x58
	s_wait_kmcnt 0x0
	s_bitcmp1_b32 s18, 0
	s_cselect_b32 s4, -1, 0
	s_delay_alu instid0(SALU_CYCLE_1)
	s_and_b32 vcc_lo, exec_lo, s4
	s_xor_b32 s4, s4, -1
	s_cbranch_vccnz .LBB69_2
; %bb.1:
	s_load_b32 s2, s[2:3], 0x0
.LBB69_2:
	s_and_not1_b32 vcc_lo, exec_lo, s4
	s_cbranch_vccnz .LBB69_4
; %bb.3:
	s_load_b32 s24, s[24:25], 0x0
.LBB69_4:
	s_wait_kmcnt 0x0
	s_cmp_eq_f32 s2, 0
	s_cselect_b32 s3, -1, 0
	s_cmp_eq_f32 s24, 1.0
	s_cselect_b32 s4, -1, 0
	s_delay_alu instid0(SALU_CYCLE_1) | instskip(NEXT) | instid1(SALU_CYCLE_1)
	s_and_b32 s3, s3, s4
	s_and_b32 vcc_lo, exec_lo, s3
	s_cbranch_vccnz .LBB69_30
; %bb.5:
	s_clause 0x1
	s_load_b32 s3, s[0:1], 0x94
	s_load_b96 s[20:22], s[0:1], 0x0
	s_bfe_u32 s4, ttmp6, 0x4000c
	s_and_b32 s5, ttmp6, 15
	s_add_co_i32 s4, s4, 1
	s_getreg_b32 s6, hwreg(HW_REG_IB_STS2, 6, 4)
	s_mul_i32 s4, ttmp9, s4
	s_delay_alu instid0(SALU_CYCLE_1) | instskip(SKIP_4) | instid1(SALU_CYCLE_1)
	s_add_co_i32 s5, s5, s4
	s_wait_kmcnt 0x0
	s_and_b32 s3, s3, 0xffff
	s_cmp_eq_u32 s6, 0
	s_cselect_b32 s4, ttmp9, s5
	v_mad_u32 v1, s4, s3, v0
	s_mov_b32 s3, exec_lo
	s_delay_alu instid0(VALU_DEP_1) | instskip(NEXT) | instid1(VALU_DEP_1)
	v_lshrrev_b32_e32 v2, 4, v1
	v_cmpx_gt_i32_e64 s21, v2
	s_cbranch_execz .LBB69_30
; %bb.6:
	s_cmp_lt_i32 s22, 1
	s_cbranch_scc1 .LBB69_30
; %bb.7:
	s_load_b256 s[4:11], s[0:1], 0x28
	v_dual_mov_b32 v3, 0 :: v_dual_lshlrev_b32 v2, 2, v2
	s_load_b128 s[12:15], s[0:1], 0x60
	s_cmp_eq_u32 s20, 0
	v_lshrrev_b32_e32 v10, 3, v0
	s_cselect_b32 vcc_lo, -1, 0
	s_cmp_neq_f32 s24, 0
	s_delay_alu instid0(VALU_DEP_1)
	v_lshl_add_u32 v9, v10, 5, 0x180
	v_mul_u32_u24_e32 v10, 48, v10
	s_cselect_b32 s3, -1, 0
	s_cmp_lg_u32 s16, 1
	s_wait_kmcnt 0x0
	global_load_b64 v[4:5], v2, s[4:5]
	s_wait_xcnt 0x0
	v_lshrrev_b32_e32 v2, 3, v1
	s_load_b64 s[4:5], s[0:1], 0x48
	v_bfe_u32 v1, v1, 3, 1
	v_and_b32_e32 v8, 7, v0
	s_delay_alu instid0(VALU_DEP_3) | instskip(NEXT) | instid1(VALU_DEP_3)
	v_mul_u64_e32 v[6:7], s[14:15], v[2:3]
	v_dual_lshlrev_b32 v2, 2, v2 :: v_dual_bitop2_b32 v0, 2, v1 bitop3:0x54
	v_lshlrev_b32_e32 v12, 1, v1
	s_delay_alu instid0(VALU_DEP_4) | instskip(SKIP_1) | instid1(VALU_DEP_3)
	v_mul_u32_u24_e32 v16, 6, v8
	v_lshl_or_b32 v11, v8, 2, v9
	v_dual_cndmask_b32 v12, v1, v12, vcc_lo :: v_dual_bitop2_b32 v13, 1, v12 bitop3:0x54
	s_delay_alu instid0(VALU_DEP_1)
	v_dual_cndmask_b32 v13, v0, v13 :: v_dual_add_nc_u32 v16, v10, v16
	v_add_nc_u64_e32 v[0:1], s[12:13], v[2:3]
	v_lshl_add_u64 v[2:3], v[6:7], 2, s[12:13]
	s_mov_b32 s12, 0
	s_cselect_b32 s13, -1, 0
	s_wait_loadcnt 0x0
	v_subrev_nc_u32_e32 v14, s17, v4
	v_subrev_nc_u32_e32 v15, s17, v5
	s_wait_xcnt 0x0
	v_cmp_lt_i32_e64 s0, v4, v5
	s_branch .LBB69_9
.LBB69_8:                               ;   in Loop: Header=BB69_9 Depth=1
	s_wait_xcnt 0x0
	s_or_b32 exec_lo, exec_lo, s1
	s_add_co_i32 s12, s12, 8
	s_delay_alu instid0(SALU_CYCLE_1)
	s_cmp_lt_i32 s12, s22
	s_cbranch_scc0 .LBB69_30
.LBB69_9:                               ; =>This Loop Header: Depth=1
                                        ;     Child Loop BB69_12 Depth 2
                                        ;       Child Loop BB69_16 Depth 3
	v_dual_mov_b32 v17, 0 :: v_dual_bitop2_b32 v4, s12, v8 bitop3:0x54
	s_delay_alu instid0(VALU_DEP_1) | instskip(NEXT) | instid1(VALU_DEP_3)
	v_ashrrev_i32_e32 v5, 31, v4
	s_and_saveexec_b32 s16, s0
	s_cbranch_execz .LBB69_18
; %bb.10:                               ;   in Loop: Header=BB69_9 Depth=1
	s_delay_alu instid0(VALU_DEP_1)
	v_lshl_add_u64 v[6:7], v[4:5], 1, s[10:11]
	v_dual_mov_b32 v17, 0 :: v_dual_mov_b32 v18, v14
	s_mov_b32 s18, 0
	v_cmp_gt_i32_e32 vcc_lo, s22, v4
	s_branch .LBB69_12
.LBB69_11:                              ;   in Loop: Header=BB69_12 Depth=2
	s_or_b32 exec_lo, exec_lo, s1
	v_add_nc_u32_e32 v18, 8, v18
	s_delay_alu instid0(VALU_DEP_1) | instskip(SKIP_1) | instid1(SALU_CYCLE_1)
	v_cmp_ge_i32_e64 s1, v18, v15
	s_or_b32 s18, s1, s18
	s_and_not1_b32 exec_lo, exec_lo, s18
	s_cbranch_execz .LBB69_17
.LBB69_12:                              ;   Parent Loop BB69_9 Depth=1
                                        ; =>  This Loop Header: Depth=2
                                        ;       Child Loop BB69_16 Depth 3
	s_delay_alu instid0(VALU_DEP_2) | instskip(SKIP_2) | instid1(VALU_DEP_2)
	v_dual_mov_b32 v21, 0 :: v_dual_add_nc_u32 v22, v18, v8
	v_dual_mov_b32 v19, 0 :: v_dual_mov_b32 v20, 0
	s_mov_b32 s19, exec_lo
	v_cmpx_lt_i32_e64 v22, v15
	s_cbranch_execz .LBB69_14
; %bb.13:                               ;   in Loop: Header=BB69_12 Depth=2
	global_load_b32 v21, v22, s[6:7] scale_offset
	s_wait_loadcnt 0x0
	v_subrev_nc_u32_e32 v21, s17, v21
	s_delay_alu instid0(VALU_DEP_1) | instskip(SKIP_1) | instid1(VALU_DEP_1)
	v_dual_lshlrev_b32 v19, 2, v22 :: v_dual_lshlrev_b32 v21, 1, v21
	s_wait_xcnt 0x0
	v_or_b32_e32 v22, v19, v12
	v_or_b32_e32 v23, v19, v13
	s_clause 0x1
	global_load_u16 v19, v22, s[8:9] scale_offset
	global_load_u16 v20, v23, s[8:9] scale_offset
.LBB69_14:                              ;   in Loop: Header=BB69_12 Depth=2
	s_wait_xcnt 0x0
	s_or_b32 exec_lo, exec_lo, s19
	ds_store_b32 v11, v21
	s_wait_loadcnt 0x1
	ds_store_b16 v16, v19
	s_wait_loadcnt 0x0
	ds_store_b16 v16, v20 offset:2
	s_wait_dscnt 0x0
	s_barrier_signal -1
	s_barrier_wait -1
	s_and_saveexec_b32 s1, vcc_lo
	s_cbranch_execz .LBB69_11
; %bb.15:                               ;   in Loop: Header=BB69_12 Depth=2
	v_mov_b32_e32 v19, v10
	s_mov_b32 s19, 0
.LBB69_16:                              ;   Parent Loop BB69_9 Depth=1
                                        ;     Parent Loop BB69_12 Depth=2
                                        ; =>    This Inner Loop Header: Depth=3
	s_delay_alu instid0(SALU_CYCLE_1) | instskip(SKIP_1) | instid1(SALU_CYCLE_1)
	v_add_nc_u32_e32 v20, s19, v9
	s_add_co_i32 s19, s19, 8
	s_cmp_lg_u32 s19, 32
	ds_load_b64 v[20:21], v20
	s_wait_dscnt 0x0
	v_dual_mov_b32 v22, v20 :: v_dual_ashrrev_i32 v23, 31, v20
	v_dual_add_nc_u32 v24, 1, v20 :: v_dual_ashrrev_i32 v27, 31, v21
	v_dual_mov_b32 v26, v21 :: v_dual_add_nc_u32 v20, 1, v21
	s_wait_kmcnt 0x0
	s_delay_alu instid0(VALU_DEP_3) | instskip(NEXT) | instid1(VALU_DEP_3)
	v_mul_u64_e32 v[22:23], s[4:5], v[22:23]
	v_ashrrev_i32_e32 v25, 31, v24
	s_delay_alu instid0(VALU_DEP_3) | instskip(SKIP_1) | instid1(VALU_DEP_3)
	v_mul_u64_e32 v[26:27], s[4:5], v[26:27]
	v_ashrrev_i32_e32 v21, 31, v20
	v_mul_u64_e32 v[24:25], s[4:5], v[24:25]
	s_delay_alu instid0(VALU_DEP_2)
	v_mul_u64_e32 v[20:21], s[4:5], v[20:21]
	v_lshl_add_u64 v[22:23], v[22:23], 1, v[6:7]
	global_load_u16 v28, v[22:23], off
	s_wait_xcnt 0x0
	v_lshl_add_u64 v[22:23], v[24:25], 1, v[6:7]
	v_lshl_add_u64 v[24:25], v[26:27], 1, v[6:7]
	;; [unrolled: 1-line block ×3, first 2 shown]
	s_clause 0x2
	global_load_u16 v22, v[22:23], off
	global_load_u16 v23, v[24:25], off
	;; [unrolled: 1-line block ×3, first 2 shown]
	s_wait_xcnt 0x0
	ds_load_b32 v20, v19
	ds_load_u16 v21, v19 offset:6
	ds_load_u16 v24, v19 offset:8
	v_add_nc_u32_e32 v19, 12, v19
	s_wait_loadcnt_dscnt 0x302
	v_fma_mix_f32 v17, v20, v28, v17 op_sel_hi:[1,1,0]
	s_wait_loadcnt 0x2
	s_delay_alu instid0(VALU_DEP_1) | instskip(SKIP_1) | instid1(VALU_DEP_1)
	v_fma_mix_f32 v17, v20, v22, v17 op_sel:[1,0,0] op_sel_hi:[1,1,0]
	s_wait_loadcnt_dscnt 0x101
	v_fma_mix_f32 v17, v21, v23, v17 op_sel_hi:[1,1,0]
	s_wait_loadcnt_dscnt 0x0
	s_delay_alu instid0(VALU_DEP_1)
	v_fma_mix_f32 v17, v24, v26, v17 op_sel_hi:[1,1,0]
	s_cbranch_scc1 .LBB69_16
	s_branch .LBB69_11
.LBB69_17:                              ;   in Loop: Header=BB69_9 Depth=1
	s_or_b32 exec_lo, exec_lo, s18
.LBB69_18:                              ;   in Loop: Header=BB69_9 Depth=1
	s_delay_alu instid0(SALU_CYCLE_1) | instskip(NEXT) | instid1(SALU_CYCLE_1)
	s_or_b32 exec_lo, exec_lo, s16
	s_mov_b32 s1, exec_lo
	v_cmpx_gt_i32_e64 s22, v4
	s_cbranch_execz .LBB69_8
; %bb.19:                               ;   in Loop: Header=BB69_9 Depth=1
	s_and_b32 vcc_lo, exec_lo, s3
	s_cbranch_vccz .LBB69_25
; %bb.20:                               ;   in Loop: Header=BB69_9 Depth=1
	s_and_b32 vcc_lo, exec_lo, s13
	s_mov_b32 s16, -1
	s_cbranch_vccz .LBB69_22
; %bb.21:                               ;   in Loop: Header=BB69_9 Depth=1
	v_lshl_add_u64 v[6:7], v[4:5], 2, v[2:3]
	v_mul_f32_e32 v19, s2, v17
	s_mov_b32 s16, 0
	global_load_b32 v18, v[6:7], off
	s_wait_loadcnt 0x0
	v_fmac_f32_e32 v19, s24, v18
	global_store_b32 v[6:7], v19, off
.LBB69_22:                              ;   in Loop: Header=BB69_9 Depth=1
	s_and_not1_b32 vcc_lo, exec_lo, s16
	s_cbranch_vccnz .LBB69_24
; %bb.23:                               ;   in Loop: Header=BB69_9 Depth=1
	s_wait_xcnt 0x0
	v_mul_u64_e32 v[6:7], s[14:15], v[4:5]
	v_mul_f32_e32 v19, s2, v17
	s_delay_alu instid0(VALU_DEP_2)
	v_lshl_add_u64 v[6:7], v[6:7], 2, v[0:1]
	global_load_b32 v18, v[6:7], off
	s_wait_loadcnt 0x0
	v_fmac_f32_e32 v19, s24, v18
	global_store_b32 v[6:7], v19, off
.LBB69_24:                              ;   in Loop: Header=BB69_9 Depth=1
	s_cbranch_execnz .LBB69_8
	s_branch .LBB69_26
.LBB69_25:                              ;   in Loop: Header=BB69_9 Depth=1
.LBB69_26:                              ;   in Loop: Header=BB69_9 Depth=1
	s_wait_xcnt 0x0
	v_mul_f32_e32 v6, s2, v17
	s_and_b32 vcc_lo, exec_lo, s13
	s_mov_b32 s16, -1
	s_cbranch_vccz .LBB69_28
; %bb.27:                               ;   in Loop: Header=BB69_9 Depth=1
	v_lshl_add_u64 v[18:19], v[4:5], 2, v[2:3]
	s_mov_b32 s16, 0
	global_store_b32 v[18:19], v6, off
.LBB69_28:                              ;   in Loop: Header=BB69_9 Depth=1
	s_and_not1_b32 vcc_lo, exec_lo, s16
	s_cbranch_vccnz .LBB69_8
; %bb.29:                               ;   in Loop: Header=BB69_9 Depth=1
	v_mul_u64_e32 v[4:5], s[14:15], v[4:5]
	s_delay_alu instid0(VALU_DEP_1)
	v_lshl_add_u64 v[4:5], v[4:5], 2, v[0:1]
	global_store_b32 v[4:5], v6, off
	s_branch .LBB69_8
.LBB69_30:
	s_endpgm
	.section	.rodata,"a",@progbits
	.p2align	6, 0x0
	.amdhsa_kernel _ZN9rocsparseL29bsrmmnt_small_blockdim_kernelILj64ELj8ELj2EiiDF16_DF16_ffEEv20rocsparse_direction_T3_S2_llNS_24const_host_device_scalarIT7_EEPKT2_PKS2_PKT4_PKT5_llS5_PT6_ll16rocsparse_order_21rocsparse_index_base_b
		.amdhsa_group_segment_fixed_size 640
		.amdhsa_private_segment_fixed_size 0
		.amdhsa_kernarg_size 392
		.amdhsa_user_sgpr_count 2
		.amdhsa_user_sgpr_dispatch_ptr 0
		.amdhsa_user_sgpr_queue_ptr 0
		.amdhsa_user_sgpr_kernarg_segment_ptr 1
		.amdhsa_user_sgpr_dispatch_id 0
		.amdhsa_user_sgpr_kernarg_preload_length 0
		.amdhsa_user_sgpr_kernarg_preload_offset 0
		.amdhsa_user_sgpr_private_segment_size 0
		.amdhsa_wavefront_size32 1
		.amdhsa_uses_dynamic_stack 0
		.amdhsa_enable_private_segment 0
		.amdhsa_system_sgpr_workgroup_id_x 1
		.amdhsa_system_sgpr_workgroup_id_y 0
		.amdhsa_system_sgpr_workgroup_id_z 0
		.amdhsa_system_sgpr_workgroup_info 0
		.amdhsa_system_vgpr_workitem_id 0
		.amdhsa_next_free_vgpr 29
		.amdhsa_next_free_sgpr 26
		.amdhsa_named_barrier_count 0
		.amdhsa_reserve_vcc 1
		.amdhsa_float_round_mode_32 0
		.amdhsa_float_round_mode_16_64 0
		.amdhsa_float_denorm_mode_32 3
		.amdhsa_float_denorm_mode_16_64 3
		.amdhsa_fp16_overflow 0
		.amdhsa_memory_ordered 1
		.amdhsa_forward_progress 1
		.amdhsa_inst_pref_size 11
		.amdhsa_round_robin_scheduling 0
		.amdhsa_exception_fp_ieee_invalid_op 0
		.amdhsa_exception_fp_denorm_src 0
		.amdhsa_exception_fp_ieee_div_zero 0
		.amdhsa_exception_fp_ieee_overflow 0
		.amdhsa_exception_fp_ieee_underflow 0
		.amdhsa_exception_fp_ieee_inexact 0
		.amdhsa_exception_int_div_zero 0
	.end_amdhsa_kernel
	.section	.text._ZN9rocsparseL29bsrmmnt_small_blockdim_kernelILj64ELj8ELj2EiiDF16_DF16_ffEEv20rocsparse_direction_T3_S2_llNS_24const_host_device_scalarIT7_EEPKT2_PKS2_PKT4_PKT5_llS5_PT6_ll16rocsparse_order_21rocsparse_index_base_b,"axG",@progbits,_ZN9rocsparseL29bsrmmnt_small_blockdim_kernelILj64ELj8ELj2EiiDF16_DF16_ffEEv20rocsparse_direction_T3_S2_llNS_24const_host_device_scalarIT7_EEPKT2_PKS2_PKT4_PKT5_llS5_PT6_ll16rocsparse_order_21rocsparse_index_base_b,comdat
.Lfunc_end69:
	.size	_ZN9rocsparseL29bsrmmnt_small_blockdim_kernelILj64ELj8ELj2EiiDF16_DF16_ffEEv20rocsparse_direction_T3_S2_llNS_24const_host_device_scalarIT7_EEPKT2_PKS2_PKT4_PKT5_llS5_PT6_ll16rocsparse_order_21rocsparse_index_base_b, .Lfunc_end69-_ZN9rocsparseL29bsrmmnt_small_blockdim_kernelILj64ELj8ELj2EiiDF16_DF16_ffEEv20rocsparse_direction_T3_S2_llNS_24const_host_device_scalarIT7_EEPKT2_PKS2_PKT4_PKT5_llS5_PT6_ll16rocsparse_order_21rocsparse_index_base_b
                                        ; -- End function
	.set _ZN9rocsparseL29bsrmmnt_small_blockdim_kernelILj64ELj8ELj2EiiDF16_DF16_ffEEv20rocsparse_direction_T3_S2_llNS_24const_host_device_scalarIT7_EEPKT2_PKS2_PKT4_PKT5_llS5_PT6_ll16rocsparse_order_21rocsparse_index_base_b.num_vgpr, 29
	.set _ZN9rocsparseL29bsrmmnt_small_blockdim_kernelILj64ELj8ELj2EiiDF16_DF16_ffEEv20rocsparse_direction_T3_S2_llNS_24const_host_device_scalarIT7_EEPKT2_PKS2_PKT4_PKT5_llS5_PT6_ll16rocsparse_order_21rocsparse_index_base_b.num_agpr, 0
	.set _ZN9rocsparseL29bsrmmnt_small_blockdim_kernelILj64ELj8ELj2EiiDF16_DF16_ffEEv20rocsparse_direction_T3_S2_llNS_24const_host_device_scalarIT7_EEPKT2_PKS2_PKT4_PKT5_llS5_PT6_ll16rocsparse_order_21rocsparse_index_base_b.numbered_sgpr, 26
	.set _ZN9rocsparseL29bsrmmnt_small_blockdim_kernelILj64ELj8ELj2EiiDF16_DF16_ffEEv20rocsparse_direction_T3_S2_llNS_24const_host_device_scalarIT7_EEPKT2_PKS2_PKT4_PKT5_llS5_PT6_ll16rocsparse_order_21rocsparse_index_base_b.num_named_barrier, 0
	.set _ZN9rocsparseL29bsrmmnt_small_blockdim_kernelILj64ELj8ELj2EiiDF16_DF16_ffEEv20rocsparse_direction_T3_S2_llNS_24const_host_device_scalarIT7_EEPKT2_PKS2_PKT4_PKT5_llS5_PT6_ll16rocsparse_order_21rocsparse_index_base_b.private_seg_size, 0
	.set _ZN9rocsparseL29bsrmmnt_small_blockdim_kernelILj64ELj8ELj2EiiDF16_DF16_ffEEv20rocsparse_direction_T3_S2_llNS_24const_host_device_scalarIT7_EEPKT2_PKS2_PKT4_PKT5_llS5_PT6_ll16rocsparse_order_21rocsparse_index_base_b.uses_vcc, 1
	.set _ZN9rocsparseL29bsrmmnt_small_blockdim_kernelILj64ELj8ELj2EiiDF16_DF16_ffEEv20rocsparse_direction_T3_S2_llNS_24const_host_device_scalarIT7_EEPKT2_PKS2_PKT4_PKT5_llS5_PT6_ll16rocsparse_order_21rocsparse_index_base_b.uses_flat_scratch, 0
	.set _ZN9rocsparseL29bsrmmnt_small_blockdim_kernelILj64ELj8ELj2EiiDF16_DF16_ffEEv20rocsparse_direction_T3_S2_llNS_24const_host_device_scalarIT7_EEPKT2_PKS2_PKT4_PKT5_llS5_PT6_ll16rocsparse_order_21rocsparse_index_base_b.has_dyn_sized_stack, 0
	.set _ZN9rocsparseL29bsrmmnt_small_blockdim_kernelILj64ELj8ELj2EiiDF16_DF16_ffEEv20rocsparse_direction_T3_S2_llNS_24const_host_device_scalarIT7_EEPKT2_PKS2_PKT4_PKT5_llS5_PT6_ll16rocsparse_order_21rocsparse_index_base_b.has_recursion, 0
	.set _ZN9rocsparseL29bsrmmnt_small_blockdim_kernelILj64ELj8ELj2EiiDF16_DF16_ffEEv20rocsparse_direction_T3_S2_llNS_24const_host_device_scalarIT7_EEPKT2_PKS2_PKT4_PKT5_llS5_PT6_ll16rocsparse_order_21rocsparse_index_base_b.has_indirect_call, 0
	.section	.AMDGPU.csdata,"",@progbits
; Kernel info:
; codeLenInByte = 1288
; TotalNumSgprs: 28
; NumVgprs: 29
; ScratchSize: 0
; MemoryBound: 0
; FloatMode: 240
; IeeeMode: 1
; LDSByteSize: 640 bytes/workgroup (compile time only)
; SGPRBlocks: 0
; VGPRBlocks: 1
; NumSGPRsForWavesPerEU: 28
; NumVGPRsForWavesPerEU: 29
; NamedBarCnt: 0
; Occupancy: 16
; WaveLimiterHint : 0
; COMPUTE_PGM_RSRC2:SCRATCH_EN: 0
; COMPUTE_PGM_RSRC2:USER_SGPR: 2
; COMPUTE_PGM_RSRC2:TRAP_HANDLER: 0
; COMPUTE_PGM_RSRC2:TGID_X_EN: 1
; COMPUTE_PGM_RSRC2:TGID_Y_EN: 0
; COMPUTE_PGM_RSRC2:TGID_Z_EN: 0
; COMPUTE_PGM_RSRC2:TIDIG_COMP_CNT: 0
	.section	.text._ZN9rocsparseL29bsrmmnt_small_blockdim_kernelILj64ELj16ELj2EiiDF16_DF16_ffEEv20rocsparse_direction_T3_S2_llNS_24const_host_device_scalarIT7_EEPKT2_PKS2_PKT4_PKT5_llS5_PT6_ll16rocsparse_order_21rocsparse_index_base_b,"axG",@progbits,_ZN9rocsparseL29bsrmmnt_small_blockdim_kernelILj64ELj16ELj2EiiDF16_DF16_ffEEv20rocsparse_direction_T3_S2_llNS_24const_host_device_scalarIT7_EEPKT2_PKS2_PKT4_PKT5_llS5_PT6_ll16rocsparse_order_21rocsparse_index_base_b,comdat
	.globl	_ZN9rocsparseL29bsrmmnt_small_blockdim_kernelILj64ELj16ELj2EiiDF16_DF16_ffEEv20rocsparse_direction_T3_S2_llNS_24const_host_device_scalarIT7_EEPKT2_PKS2_PKT4_PKT5_llS5_PT6_ll16rocsparse_order_21rocsparse_index_base_b ; -- Begin function _ZN9rocsparseL29bsrmmnt_small_blockdim_kernelILj64ELj16ELj2EiiDF16_DF16_ffEEv20rocsparse_direction_T3_S2_llNS_24const_host_device_scalarIT7_EEPKT2_PKS2_PKT4_PKT5_llS5_PT6_ll16rocsparse_order_21rocsparse_index_base_b
	.p2align	8
	.type	_ZN9rocsparseL29bsrmmnt_small_blockdim_kernelILj64ELj16ELj2EiiDF16_DF16_ffEEv20rocsparse_direction_T3_S2_llNS_24const_host_device_scalarIT7_EEPKT2_PKS2_PKT4_PKT5_llS5_PT6_ll16rocsparse_order_21rocsparse_index_base_b,@function
_ZN9rocsparseL29bsrmmnt_small_blockdim_kernelILj64ELj16ELj2EiiDF16_DF16_ffEEv20rocsparse_direction_T3_S2_llNS_24const_host_device_scalarIT7_EEPKT2_PKS2_PKT4_PKT5_llS5_PT6_ll16rocsparse_order_21rocsparse_index_base_b: ; @_ZN9rocsparseL29bsrmmnt_small_blockdim_kernelILj64ELj16ELj2EiiDF16_DF16_ffEEv20rocsparse_direction_T3_S2_llNS_24const_host_device_scalarIT7_EEPKT2_PKS2_PKT4_PKT5_llS5_PT6_ll16rocsparse_order_21rocsparse_index_base_b
; %bb.0:
	s_clause 0x2
	s_load_b96 s[16:18], s[0:1], 0x78
	s_load_b64 s[2:3], s[0:1], 0x20
	s_load_b64 s[24:25], s[0:1], 0x58
	s_wait_kmcnt 0x0
	s_bitcmp1_b32 s18, 0
	s_cselect_b32 s4, -1, 0
	s_delay_alu instid0(SALU_CYCLE_1)
	s_and_b32 vcc_lo, exec_lo, s4
	s_xor_b32 s4, s4, -1
	s_cbranch_vccnz .LBB70_2
; %bb.1:
	s_load_b32 s2, s[2:3], 0x0
.LBB70_2:
	s_and_not1_b32 vcc_lo, exec_lo, s4
	s_cbranch_vccnz .LBB70_4
; %bb.3:
	s_load_b32 s24, s[24:25], 0x0
.LBB70_4:
	s_wait_kmcnt 0x0
	s_cmp_eq_f32 s2, 0
	s_cselect_b32 s3, -1, 0
	s_cmp_eq_f32 s24, 1.0
	s_cselect_b32 s4, -1, 0
	s_delay_alu instid0(SALU_CYCLE_1) | instskip(NEXT) | instid1(SALU_CYCLE_1)
	s_and_b32 s3, s3, s4
	s_and_b32 vcc_lo, exec_lo, s3
	s_cbranch_vccnz .LBB70_30
; %bb.5:
	s_clause 0x1
	s_load_b32 s3, s[0:1], 0x94
	s_load_b96 s[20:22], s[0:1], 0x0
	s_bfe_u32 s4, ttmp6, 0x4000c
	s_and_b32 s5, ttmp6, 15
	s_add_co_i32 s4, s4, 1
	s_getreg_b32 s6, hwreg(HW_REG_IB_STS2, 6, 4)
	s_mul_i32 s4, ttmp9, s4
	s_delay_alu instid0(SALU_CYCLE_1) | instskip(SKIP_4) | instid1(SALU_CYCLE_1)
	s_add_co_i32 s5, s5, s4
	s_wait_kmcnt 0x0
	s_and_b32 s3, s3, 0xffff
	s_cmp_eq_u32 s6, 0
	s_cselect_b32 s4, ttmp9, s5
	v_mad_u32 v1, s4, s3, v0
	s_mov_b32 s3, exec_lo
	s_delay_alu instid0(VALU_DEP_1) | instskip(NEXT) | instid1(VALU_DEP_1)
	v_lshrrev_b32_e32 v2, 5, v1
	v_cmpx_gt_i32_e64 s21, v2
	s_cbranch_execz .LBB70_30
; %bb.6:
	s_cmp_lt_i32 s22, 1
	s_cbranch_scc1 .LBB70_30
; %bb.7:
	s_load_b256 s[4:11], s[0:1], 0x28
	v_dual_mov_b32 v3, 0 :: v_dual_lshlrev_b32 v2, 2, v2
	s_load_b128 s[12:15], s[0:1], 0x60
	s_cmp_eq_u32 s20, 0
	v_lshrrev_b32_e32 v10, 4, v0
	s_cselect_b32 vcc_lo, -1, 0
	s_cmp_neq_f32 s24, 0
	s_delay_alu instid0(VALU_DEP_1)
	v_lshl_add_u32 v9, v10, 6, 0x180
	v_mul_u32_u24_e32 v10, 0x60, v10
	s_cselect_b32 s3, -1, 0
	s_cmp_lg_u32 s16, 1
	s_wait_kmcnt 0x0
	global_load_b64 v[4:5], v2, s[4:5]
	s_wait_xcnt 0x0
	v_lshrrev_b32_e32 v2, 4, v1
	s_load_b64 s[4:5], s[0:1], 0x48
	v_bfe_u32 v1, v1, 4, 1
	v_and_b32_e32 v8, 15, v0
	s_delay_alu instid0(VALU_DEP_3) | instskip(NEXT) | instid1(VALU_DEP_3)
	v_mul_u64_e32 v[6:7], s[14:15], v[2:3]
	v_dual_lshlrev_b32 v2, 2, v2 :: v_dual_bitop2_b32 v0, 2, v1 bitop3:0x54
	v_lshlrev_b32_e32 v12, 1, v1
	s_delay_alu instid0(VALU_DEP_4) | instskip(SKIP_1) | instid1(VALU_DEP_3)
	v_mul_u32_u24_e32 v16, 6, v8
	v_lshl_or_b32 v11, v8, 2, v9
	v_dual_cndmask_b32 v12, v1, v12, vcc_lo :: v_dual_bitop2_b32 v13, 1, v12 bitop3:0x54
	s_delay_alu instid0(VALU_DEP_1)
	v_dual_cndmask_b32 v13, v0, v13 :: v_dual_add_nc_u32 v16, v10, v16
	v_add_nc_u64_e32 v[0:1], s[12:13], v[2:3]
	v_lshl_add_u64 v[2:3], v[6:7], 2, s[12:13]
	s_mov_b32 s12, 0
	s_cselect_b32 s13, -1, 0
	s_wait_loadcnt 0x0
	v_subrev_nc_u32_e32 v14, s17, v4
	v_subrev_nc_u32_e32 v15, s17, v5
	s_wait_xcnt 0x0
	v_cmp_lt_i32_e64 s0, v4, v5
	s_branch .LBB70_9
.LBB70_8:                               ;   in Loop: Header=BB70_9 Depth=1
	s_wait_xcnt 0x0
	s_or_b32 exec_lo, exec_lo, s1
	s_add_co_i32 s12, s12, 16
	s_delay_alu instid0(SALU_CYCLE_1)
	s_cmp_lt_i32 s12, s22
	s_cbranch_scc0 .LBB70_30
.LBB70_9:                               ; =>This Loop Header: Depth=1
                                        ;     Child Loop BB70_12 Depth 2
                                        ;       Child Loop BB70_16 Depth 3
	v_dual_mov_b32 v17, 0 :: v_dual_bitop2_b32 v4, s12, v8 bitop3:0x54
	s_delay_alu instid0(VALU_DEP_1) | instskip(NEXT) | instid1(VALU_DEP_3)
	v_ashrrev_i32_e32 v5, 31, v4
	s_and_saveexec_b32 s16, s0
	s_cbranch_execz .LBB70_18
; %bb.10:                               ;   in Loop: Header=BB70_9 Depth=1
	s_delay_alu instid0(VALU_DEP_1)
	v_lshl_add_u64 v[6:7], v[4:5], 1, s[10:11]
	v_dual_mov_b32 v17, 0 :: v_dual_mov_b32 v18, v14
	s_mov_b32 s18, 0
	v_cmp_gt_i32_e32 vcc_lo, s22, v4
	s_branch .LBB70_12
.LBB70_11:                              ;   in Loop: Header=BB70_12 Depth=2
	s_or_b32 exec_lo, exec_lo, s1
	v_add_nc_u32_e32 v18, 16, v18
	s_delay_alu instid0(VALU_DEP_1) | instskip(SKIP_1) | instid1(SALU_CYCLE_1)
	v_cmp_ge_i32_e64 s1, v18, v15
	s_or_b32 s18, s1, s18
	s_and_not1_b32 exec_lo, exec_lo, s18
	s_cbranch_execz .LBB70_17
.LBB70_12:                              ;   Parent Loop BB70_9 Depth=1
                                        ; =>  This Loop Header: Depth=2
                                        ;       Child Loop BB70_16 Depth 3
	s_delay_alu instid0(VALU_DEP_2) | instskip(SKIP_2) | instid1(VALU_DEP_2)
	v_dual_mov_b32 v21, 0 :: v_dual_add_nc_u32 v22, v18, v8
	v_dual_mov_b32 v19, 0 :: v_dual_mov_b32 v20, 0
	s_mov_b32 s19, exec_lo
	v_cmpx_lt_i32_e64 v22, v15
	s_cbranch_execz .LBB70_14
; %bb.13:                               ;   in Loop: Header=BB70_12 Depth=2
	global_load_b32 v21, v22, s[6:7] scale_offset
	s_wait_loadcnt 0x0
	v_subrev_nc_u32_e32 v21, s17, v21
	s_delay_alu instid0(VALU_DEP_1) | instskip(SKIP_1) | instid1(VALU_DEP_1)
	v_dual_lshlrev_b32 v19, 2, v22 :: v_dual_lshlrev_b32 v21, 1, v21
	s_wait_xcnt 0x0
	v_or_b32_e32 v22, v19, v12
	v_or_b32_e32 v23, v19, v13
	s_clause 0x1
	global_load_u16 v19, v22, s[8:9] scale_offset
	global_load_u16 v20, v23, s[8:9] scale_offset
.LBB70_14:                              ;   in Loop: Header=BB70_12 Depth=2
	s_wait_xcnt 0x0
	s_or_b32 exec_lo, exec_lo, s19
	ds_store_b32 v11, v21
	s_wait_loadcnt 0x1
	ds_store_b16 v16, v19
	s_wait_loadcnt 0x0
	ds_store_b16 v16, v20 offset:2
	s_wait_dscnt 0x0
	s_barrier_signal -1
	s_barrier_wait -1
	s_and_saveexec_b32 s1, vcc_lo
	s_cbranch_execz .LBB70_11
; %bb.15:                               ;   in Loop: Header=BB70_12 Depth=2
	v_mov_b32_e32 v19, v10
	s_mov_b32 s19, 0
.LBB70_16:                              ;   Parent Loop BB70_9 Depth=1
                                        ;     Parent Loop BB70_12 Depth=2
                                        ; =>    This Inner Loop Header: Depth=3
	s_delay_alu instid0(SALU_CYCLE_1) | instskip(SKIP_1) | instid1(SALU_CYCLE_1)
	v_add_nc_u32_e32 v20, s19, v9
	s_add_co_i32 s19, s19, 8
	s_cmp_lg_u32 s19, 64
	ds_load_b64 v[20:21], v20
	s_wait_dscnt 0x0
	v_dual_mov_b32 v22, v20 :: v_dual_ashrrev_i32 v23, 31, v20
	v_dual_add_nc_u32 v24, 1, v20 :: v_dual_ashrrev_i32 v27, 31, v21
	v_dual_mov_b32 v26, v21 :: v_dual_add_nc_u32 v20, 1, v21
	s_wait_kmcnt 0x0
	s_delay_alu instid0(VALU_DEP_3) | instskip(NEXT) | instid1(VALU_DEP_3)
	v_mul_u64_e32 v[22:23], s[4:5], v[22:23]
	v_ashrrev_i32_e32 v25, 31, v24
	s_delay_alu instid0(VALU_DEP_3) | instskip(SKIP_1) | instid1(VALU_DEP_3)
	v_mul_u64_e32 v[26:27], s[4:5], v[26:27]
	v_ashrrev_i32_e32 v21, 31, v20
	v_mul_u64_e32 v[24:25], s[4:5], v[24:25]
	s_delay_alu instid0(VALU_DEP_2)
	v_mul_u64_e32 v[20:21], s[4:5], v[20:21]
	v_lshl_add_u64 v[22:23], v[22:23], 1, v[6:7]
	global_load_u16 v28, v[22:23], off
	s_wait_xcnt 0x0
	v_lshl_add_u64 v[22:23], v[24:25], 1, v[6:7]
	v_lshl_add_u64 v[24:25], v[26:27], 1, v[6:7]
	v_lshl_add_u64 v[20:21], v[20:21], 1, v[6:7]
	s_clause 0x2
	global_load_u16 v22, v[22:23], off
	global_load_u16 v23, v[24:25], off
	;; [unrolled: 1-line block ×3, first 2 shown]
	s_wait_xcnt 0x0
	ds_load_b32 v20, v19
	ds_load_u16 v21, v19 offset:6
	ds_load_u16 v24, v19 offset:8
	v_add_nc_u32_e32 v19, 12, v19
	s_wait_loadcnt_dscnt 0x302
	v_fma_mix_f32 v17, v20, v28, v17 op_sel_hi:[1,1,0]
	s_wait_loadcnt 0x2
	s_delay_alu instid0(VALU_DEP_1) | instskip(SKIP_1) | instid1(VALU_DEP_1)
	v_fma_mix_f32 v17, v20, v22, v17 op_sel:[1,0,0] op_sel_hi:[1,1,0]
	s_wait_loadcnt_dscnt 0x101
	v_fma_mix_f32 v17, v21, v23, v17 op_sel_hi:[1,1,0]
	s_wait_loadcnt_dscnt 0x0
	s_delay_alu instid0(VALU_DEP_1)
	v_fma_mix_f32 v17, v24, v26, v17 op_sel_hi:[1,1,0]
	s_cbranch_scc1 .LBB70_16
	s_branch .LBB70_11
.LBB70_17:                              ;   in Loop: Header=BB70_9 Depth=1
	s_or_b32 exec_lo, exec_lo, s18
.LBB70_18:                              ;   in Loop: Header=BB70_9 Depth=1
	s_delay_alu instid0(SALU_CYCLE_1) | instskip(NEXT) | instid1(SALU_CYCLE_1)
	s_or_b32 exec_lo, exec_lo, s16
	s_mov_b32 s1, exec_lo
	v_cmpx_gt_i32_e64 s22, v4
	s_cbranch_execz .LBB70_8
; %bb.19:                               ;   in Loop: Header=BB70_9 Depth=1
	s_and_b32 vcc_lo, exec_lo, s3
	s_cbranch_vccz .LBB70_25
; %bb.20:                               ;   in Loop: Header=BB70_9 Depth=1
	s_and_b32 vcc_lo, exec_lo, s13
	s_mov_b32 s16, -1
	s_cbranch_vccz .LBB70_22
; %bb.21:                               ;   in Loop: Header=BB70_9 Depth=1
	v_lshl_add_u64 v[6:7], v[4:5], 2, v[2:3]
	v_mul_f32_e32 v19, s2, v17
	s_mov_b32 s16, 0
	global_load_b32 v18, v[6:7], off
	s_wait_loadcnt 0x0
	v_fmac_f32_e32 v19, s24, v18
	global_store_b32 v[6:7], v19, off
.LBB70_22:                              ;   in Loop: Header=BB70_9 Depth=1
	s_and_not1_b32 vcc_lo, exec_lo, s16
	s_cbranch_vccnz .LBB70_24
; %bb.23:                               ;   in Loop: Header=BB70_9 Depth=1
	s_wait_xcnt 0x0
	v_mul_u64_e32 v[6:7], s[14:15], v[4:5]
	v_mul_f32_e32 v19, s2, v17
	s_delay_alu instid0(VALU_DEP_2)
	v_lshl_add_u64 v[6:7], v[6:7], 2, v[0:1]
	global_load_b32 v18, v[6:7], off
	s_wait_loadcnt 0x0
	v_fmac_f32_e32 v19, s24, v18
	global_store_b32 v[6:7], v19, off
.LBB70_24:                              ;   in Loop: Header=BB70_9 Depth=1
	s_cbranch_execnz .LBB70_8
	s_branch .LBB70_26
.LBB70_25:                              ;   in Loop: Header=BB70_9 Depth=1
.LBB70_26:                              ;   in Loop: Header=BB70_9 Depth=1
	s_wait_xcnt 0x0
	v_mul_f32_e32 v6, s2, v17
	s_and_b32 vcc_lo, exec_lo, s13
	s_mov_b32 s16, -1
	s_cbranch_vccz .LBB70_28
; %bb.27:                               ;   in Loop: Header=BB70_9 Depth=1
	v_lshl_add_u64 v[18:19], v[4:5], 2, v[2:3]
	s_mov_b32 s16, 0
	global_store_b32 v[18:19], v6, off
.LBB70_28:                              ;   in Loop: Header=BB70_9 Depth=1
	s_and_not1_b32 vcc_lo, exec_lo, s16
	s_cbranch_vccnz .LBB70_8
; %bb.29:                               ;   in Loop: Header=BB70_9 Depth=1
	v_mul_u64_e32 v[4:5], s[14:15], v[4:5]
	s_delay_alu instid0(VALU_DEP_1)
	v_lshl_add_u64 v[4:5], v[4:5], 2, v[0:1]
	global_store_b32 v[4:5], v6, off
	s_branch .LBB70_8
.LBB70_30:
	s_endpgm
	.section	.rodata,"a",@progbits
	.p2align	6, 0x0
	.amdhsa_kernel _ZN9rocsparseL29bsrmmnt_small_blockdim_kernelILj64ELj16ELj2EiiDF16_DF16_ffEEv20rocsparse_direction_T3_S2_llNS_24const_host_device_scalarIT7_EEPKT2_PKS2_PKT4_PKT5_llS5_PT6_ll16rocsparse_order_21rocsparse_index_base_b
		.amdhsa_group_segment_fixed_size 640
		.amdhsa_private_segment_fixed_size 0
		.amdhsa_kernarg_size 392
		.amdhsa_user_sgpr_count 2
		.amdhsa_user_sgpr_dispatch_ptr 0
		.amdhsa_user_sgpr_queue_ptr 0
		.amdhsa_user_sgpr_kernarg_segment_ptr 1
		.amdhsa_user_sgpr_dispatch_id 0
		.amdhsa_user_sgpr_kernarg_preload_length 0
		.amdhsa_user_sgpr_kernarg_preload_offset 0
		.amdhsa_user_sgpr_private_segment_size 0
		.amdhsa_wavefront_size32 1
		.amdhsa_uses_dynamic_stack 0
		.amdhsa_enable_private_segment 0
		.amdhsa_system_sgpr_workgroup_id_x 1
		.amdhsa_system_sgpr_workgroup_id_y 0
		.amdhsa_system_sgpr_workgroup_id_z 0
		.amdhsa_system_sgpr_workgroup_info 0
		.amdhsa_system_vgpr_workitem_id 0
		.amdhsa_next_free_vgpr 29
		.amdhsa_next_free_sgpr 26
		.amdhsa_named_barrier_count 0
		.amdhsa_reserve_vcc 1
		.amdhsa_float_round_mode_32 0
		.amdhsa_float_round_mode_16_64 0
		.amdhsa_float_denorm_mode_32 3
		.amdhsa_float_denorm_mode_16_64 3
		.amdhsa_fp16_overflow 0
		.amdhsa_memory_ordered 1
		.amdhsa_forward_progress 1
		.amdhsa_inst_pref_size 11
		.amdhsa_round_robin_scheduling 0
		.amdhsa_exception_fp_ieee_invalid_op 0
		.amdhsa_exception_fp_denorm_src 0
		.amdhsa_exception_fp_ieee_div_zero 0
		.amdhsa_exception_fp_ieee_overflow 0
		.amdhsa_exception_fp_ieee_underflow 0
		.amdhsa_exception_fp_ieee_inexact 0
		.amdhsa_exception_int_div_zero 0
	.end_amdhsa_kernel
	.section	.text._ZN9rocsparseL29bsrmmnt_small_blockdim_kernelILj64ELj16ELj2EiiDF16_DF16_ffEEv20rocsparse_direction_T3_S2_llNS_24const_host_device_scalarIT7_EEPKT2_PKS2_PKT4_PKT5_llS5_PT6_ll16rocsparse_order_21rocsparse_index_base_b,"axG",@progbits,_ZN9rocsparseL29bsrmmnt_small_blockdim_kernelILj64ELj16ELj2EiiDF16_DF16_ffEEv20rocsparse_direction_T3_S2_llNS_24const_host_device_scalarIT7_EEPKT2_PKS2_PKT4_PKT5_llS5_PT6_ll16rocsparse_order_21rocsparse_index_base_b,comdat
.Lfunc_end70:
	.size	_ZN9rocsparseL29bsrmmnt_small_blockdim_kernelILj64ELj16ELj2EiiDF16_DF16_ffEEv20rocsparse_direction_T3_S2_llNS_24const_host_device_scalarIT7_EEPKT2_PKS2_PKT4_PKT5_llS5_PT6_ll16rocsparse_order_21rocsparse_index_base_b, .Lfunc_end70-_ZN9rocsparseL29bsrmmnt_small_blockdim_kernelILj64ELj16ELj2EiiDF16_DF16_ffEEv20rocsparse_direction_T3_S2_llNS_24const_host_device_scalarIT7_EEPKT2_PKS2_PKT4_PKT5_llS5_PT6_ll16rocsparse_order_21rocsparse_index_base_b
                                        ; -- End function
	.set _ZN9rocsparseL29bsrmmnt_small_blockdim_kernelILj64ELj16ELj2EiiDF16_DF16_ffEEv20rocsparse_direction_T3_S2_llNS_24const_host_device_scalarIT7_EEPKT2_PKS2_PKT4_PKT5_llS5_PT6_ll16rocsparse_order_21rocsparse_index_base_b.num_vgpr, 29
	.set _ZN9rocsparseL29bsrmmnt_small_blockdim_kernelILj64ELj16ELj2EiiDF16_DF16_ffEEv20rocsparse_direction_T3_S2_llNS_24const_host_device_scalarIT7_EEPKT2_PKS2_PKT4_PKT5_llS5_PT6_ll16rocsparse_order_21rocsparse_index_base_b.num_agpr, 0
	.set _ZN9rocsparseL29bsrmmnt_small_blockdim_kernelILj64ELj16ELj2EiiDF16_DF16_ffEEv20rocsparse_direction_T3_S2_llNS_24const_host_device_scalarIT7_EEPKT2_PKS2_PKT4_PKT5_llS5_PT6_ll16rocsparse_order_21rocsparse_index_base_b.numbered_sgpr, 26
	.set _ZN9rocsparseL29bsrmmnt_small_blockdim_kernelILj64ELj16ELj2EiiDF16_DF16_ffEEv20rocsparse_direction_T3_S2_llNS_24const_host_device_scalarIT7_EEPKT2_PKS2_PKT4_PKT5_llS5_PT6_ll16rocsparse_order_21rocsparse_index_base_b.num_named_barrier, 0
	.set _ZN9rocsparseL29bsrmmnt_small_blockdim_kernelILj64ELj16ELj2EiiDF16_DF16_ffEEv20rocsparse_direction_T3_S2_llNS_24const_host_device_scalarIT7_EEPKT2_PKS2_PKT4_PKT5_llS5_PT6_ll16rocsparse_order_21rocsparse_index_base_b.private_seg_size, 0
	.set _ZN9rocsparseL29bsrmmnt_small_blockdim_kernelILj64ELj16ELj2EiiDF16_DF16_ffEEv20rocsparse_direction_T3_S2_llNS_24const_host_device_scalarIT7_EEPKT2_PKS2_PKT4_PKT5_llS5_PT6_ll16rocsparse_order_21rocsparse_index_base_b.uses_vcc, 1
	.set _ZN9rocsparseL29bsrmmnt_small_blockdim_kernelILj64ELj16ELj2EiiDF16_DF16_ffEEv20rocsparse_direction_T3_S2_llNS_24const_host_device_scalarIT7_EEPKT2_PKS2_PKT4_PKT5_llS5_PT6_ll16rocsparse_order_21rocsparse_index_base_b.uses_flat_scratch, 0
	.set _ZN9rocsparseL29bsrmmnt_small_blockdim_kernelILj64ELj16ELj2EiiDF16_DF16_ffEEv20rocsparse_direction_T3_S2_llNS_24const_host_device_scalarIT7_EEPKT2_PKS2_PKT4_PKT5_llS5_PT6_ll16rocsparse_order_21rocsparse_index_base_b.has_dyn_sized_stack, 0
	.set _ZN9rocsparseL29bsrmmnt_small_blockdim_kernelILj64ELj16ELj2EiiDF16_DF16_ffEEv20rocsparse_direction_T3_S2_llNS_24const_host_device_scalarIT7_EEPKT2_PKS2_PKT4_PKT5_llS5_PT6_ll16rocsparse_order_21rocsparse_index_base_b.has_recursion, 0
	.set _ZN9rocsparseL29bsrmmnt_small_blockdim_kernelILj64ELj16ELj2EiiDF16_DF16_ffEEv20rocsparse_direction_T3_S2_llNS_24const_host_device_scalarIT7_EEPKT2_PKS2_PKT4_PKT5_llS5_PT6_ll16rocsparse_order_21rocsparse_index_base_b.has_indirect_call, 0
	.section	.AMDGPU.csdata,"",@progbits
; Kernel info:
; codeLenInByte = 1292
; TotalNumSgprs: 28
; NumVgprs: 29
; ScratchSize: 0
; MemoryBound: 0
; FloatMode: 240
; IeeeMode: 1
; LDSByteSize: 640 bytes/workgroup (compile time only)
; SGPRBlocks: 0
; VGPRBlocks: 1
; NumSGPRsForWavesPerEU: 28
; NumVGPRsForWavesPerEU: 29
; NamedBarCnt: 0
; Occupancy: 16
; WaveLimiterHint : 0
; COMPUTE_PGM_RSRC2:SCRATCH_EN: 0
; COMPUTE_PGM_RSRC2:USER_SGPR: 2
; COMPUTE_PGM_RSRC2:TRAP_HANDLER: 0
; COMPUTE_PGM_RSRC2:TGID_X_EN: 1
; COMPUTE_PGM_RSRC2:TGID_Y_EN: 0
; COMPUTE_PGM_RSRC2:TGID_Z_EN: 0
; COMPUTE_PGM_RSRC2:TIDIG_COMP_CNT: 0
	.section	.text._ZN9rocsparseL29bsrmmnt_small_blockdim_kernelILj64ELj32ELj2EiiDF16_DF16_ffEEv20rocsparse_direction_T3_S2_llNS_24const_host_device_scalarIT7_EEPKT2_PKS2_PKT4_PKT5_llS5_PT6_ll16rocsparse_order_21rocsparse_index_base_b,"axG",@progbits,_ZN9rocsparseL29bsrmmnt_small_blockdim_kernelILj64ELj32ELj2EiiDF16_DF16_ffEEv20rocsparse_direction_T3_S2_llNS_24const_host_device_scalarIT7_EEPKT2_PKS2_PKT4_PKT5_llS5_PT6_ll16rocsparse_order_21rocsparse_index_base_b,comdat
	.globl	_ZN9rocsparseL29bsrmmnt_small_blockdim_kernelILj64ELj32ELj2EiiDF16_DF16_ffEEv20rocsparse_direction_T3_S2_llNS_24const_host_device_scalarIT7_EEPKT2_PKS2_PKT4_PKT5_llS5_PT6_ll16rocsparse_order_21rocsparse_index_base_b ; -- Begin function _ZN9rocsparseL29bsrmmnt_small_blockdim_kernelILj64ELj32ELj2EiiDF16_DF16_ffEEv20rocsparse_direction_T3_S2_llNS_24const_host_device_scalarIT7_EEPKT2_PKS2_PKT4_PKT5_llS5_PT6_ll16rocsparse_order_21rocsparse_index_base_b
	.p2align	8
	.type	_ZN9rocsparseL29bsrmmnt_small_blockdim_kernelILj64ELj32ELj2EiiDF16_DF16_ffEEv20rocsparse_direction_T3_S2_llNS_24const_host_device_scalarIT7_EEPKT2_PKS2_PKT4_PKT5_llS5_PT6_ll16rocsparse_order_21rocsparse_index_base_b,@function
_ZN9rocsparseL29bsrmmnt_small_blockdim_kernelILj64ELj32ELj2EiiDF16_DF16_ffEEv20rocsparse_direction_T3_S2_llNS_24const_host_device_scalarIT7_EEPKT2_PKS2_PKT4_PKT5_llS5_PT6_ll16rocsparse_order_21rocsparse_index_base_b: ; @_ZN9rocsparseL29bsrmmnt_small_blockdim_kernelILj64ELj32ELj2EiiDF16_DF16_ffEEv20rocsparse_direction_T3_S2_llNS_24const_host_device_scalarIT7_EEPKT2_PKS2_PKT4_PKT5_llS5_PT6_ll16rocsparse_order_21rocsparse_index_base_b
; %bb.0:
	s_clause 0x2
	s_load_b96 s[16:18], s[0:1], 0x78
	s_load_b64 s[2:3], s[0:1], 0x20
	s_load_b64 s[24:25], s[0:1], 0x58
	s_wait_kmcnt 0x0
	s_bitcmp1_b32 s18, 0
	s_cselect_b32 s4, -1, 0
	s_delay_alu instid0(SALU_CYCLE_1)
	s_and_b32 vcc_lo, exec_lo, s4
	s_xor_b32 s4, s4, -1
	s_cbranch_vccnz .LBB71_2
; %bb.1:
	s_load_b32 s2, s[2:3], 0x0
.LBB71_2:
	s_and_not1_b32 vcc_lo, exec_lo, s4
	s_cbranch_vccnz .LBB71_4
; %bb.3:
	s_load_b32 s24, s[24:25], 0x0
.LBB71_4:
	s_wait_kmcnt 0x0
	s_cmp_eq_f32 s2, 0
	s_cselect_b32 s3, -1, 0
	s_cmp_eq_f32 s24, 1.0
	s_cselect_b32 s4, -1, 0
	s_delay_alu instid0(SALU_CYCLE_1) | instskip(NEXT) | instid1(SALU_CYCLE_1)
	s_and_b32 s3, s3, s4
	s_and_b32 vcc_lo, exec_lo, s3
	s_cbranch_vccnz .LBB71_30
; %bb.5:
	s_clause 0x1
	s_load_b32 s3, s[0:1], 0x94
	s_load_b96 s[20:22], s[0:1], 0x0
	s_bfe_u32 s4, ttmp6, 0x4000c
	s_and_b32 s5, ttmp6, 15
	s_add_co_i32 s4, s4, 1
	s_getreg_b32 s6, hwreg(HW_REG_IB_STS2, 6, 4)
	s_mul_i32 s4, ttmp9, s4
	s_delay_alu instid0(SALU_CYCLE_1) | instskip(SKIP_4) | instid1(SALU_CYCLE_1)
	s_add_co_i32 s5, s5, s4
	s_wait_kmcnt 0x0
	s_and_b32 s3, s3, 0xffff
	s_cmp_eq_u32 s6, 0
	s_cselect_b32 s4, ttmp9, s5
	v_mad_u32 v1, s4, s3, v0
	s_mov_b32 s3, exec_lo
	s_delay_alu instid0(VALU_DEP_1) | instskip(NEXT) | instid1(VALU_DEP_1)
	v_lshrrev_b32_e32 v2, 6, v1
	v_cmpx_gt_i32_e64 s21, v2
	s_cbranch_execz .LBB71_30
; %bb.6:
	s_cmp_lt_i32 s22, 1
	s_cbranch_scc1 .LBB71_30
; %bb.7:
	s_load_b256 s[4:11], s[0:1], 0x28
	v_dual_mov_b32 v3, 0 :: v_dual_lshlrev_b32 v2, 2, v2
	s_load_b128 s[12:15], s[0:1], 0x60
	s_cmp_eq_u32 s20, 0
	v_lshrrev_b32_e32 v10, 5, v0
	s_cselect_b32 vcc_lo, -1, 0
	s_cmp_neq_f32 s24, 0
	s_delay_alu instid0(VALU_DEP_1)
	v_lshl_add_u32 v9, v10, 7, 0x180
	v_mul_u32_u24_e32 v10, 0xc0, v10
	s_cselect_b32 s3, -1, 0
	s_cmp_lg_u32 s16, 1
	s_wait_kmcnt 0x0
	global_load_b64 v[4:5], v2, s[4:5]
	s_wait_xcnt 0x0
	v_lshrrev_b32_e32 v2, 5, v1
	s_load_b64 s[4:5], s[0:1], 0x48
	v_bfe_u32 v1, v1, 5, 1
	v_and_b32_e32 v8, 31, v0
	s_delay_alu instid0(VALU_DEP_3) | instskip(NEXT) | instid1(VALU_DEP_3)
	v_mul_u64_e32 v[6:7], s[14:15], v[2:3]
	v_dual_lshlrev_b32 v2, 2, v2 :: v_dual_bitop2_b32 v0, 2, v1 bitop3:0x54
	v_lshlrev_b32_e32 v12, 1, v1
	s_delay_alu instid0(VALU_DEP_4) | instskip(SKIP_1) | instid1(VALU_DEP_3)
	v_mul_u32_u24_e32 v16, 6, v8
	v_lshl_or_b32 v11, v8, 2, v9
	v_dual_cndmask_b32 v12, v1, v12, vcc_lo :: v_dual_bitop2_b32 v13, 1, v12 bitop3:0x54
	s_delay_alu instid0(VALU_DEP_1)
	v_dual_cndmask_b32 v13, v0, v13 :: v_dual_add_nc_u32 v16, v10, v16
	v_add_nc_u64_e32 v[0:1], s[12:13], v[2:3]
	v_lshl_add_u64 v[2:3], v[6:7], 2, s[12:13]
	s_mov_b32 s12, 0
	s_cselect_b32 s13, -1, 0
	s_wait_loadcnt 0x0
	v_subrev_nc_u32_e32 v14, s17, v4
	v_subrev_nc_u32_e32 v15, s17, v5
	s_wait_xcnt 0x0
	v_cmp_lt_i32_e64 s0, v4, v5
	s_branch .LBB71_9
.LBB71_8:                               ;   in Loop: Header=BB71_9 Depth=1
	s_wait_xcnt 0x0
	s_or_b32 exec_lo, exec_lo, s1
	s_add_co_i32 s12, s12, 32
	s_delay_alu instid0(SALU_CYCLE_1)
	s_cmp_lt_i32 s12, s22
	s_cbranch_scc0 .LBB71_30
.LBB71_9:                               ; =>This Loop Header: Depth=1
                                        ;     Child Loop BB71_12 Depth 2
                                        ;       Child Loop BB71_16 Depth 3
	v_dual_mov_b32 v17, 0 :: v_dual_bitop2_b32 v4, s12, v8 bitop3:0x54
	s_delay_alu instid0(VALU_DEP_1) | instskip(NEXT) | instid1(VALU_DEP_3)
	v_ashrrev_i32_e32 v5, 31, v4
	s_and_saveexec_b32 s16, s0
	s_cbranch_execz .LBB71_18
; %bb.10:                               ;   in Loop: Header=BB71_9 Depth=1
	s_delay_alu instid0(VALU_DEP_1)
	v_lshl_add_u64 v[6:7], v[4:5], 1, s[10:11]
	v_dual_mov_b32 v17, 0 :: v_dual_mov_b32 v18, v14
	s_mov_b32 s18, 0
	v_cmp_gt_i32_e32 vcc_lo, s22, v4
	s_branch .LBB71_12
.LBB71_11:                              ;   in Loop: Header=BB71_12 Depth=2
	s_or_b32 exec_lo, exec_lo, s1
	v_add_nc_u32_e32 v18, 32, v18
	s_delay_alu instid0(VALU_DEP_1) | instskip(SKIP_1) | instid1(SALU_CYCLE_1)
	v_cmp_ge_i32_e64 s1, v18, v15
	s_or_b32 s18, s1, s18
	s_and_not1_b32 exec_lo, exec_lo, s18
	s_cbranch_execz .LBB71_17
.LBB71_12:                              ;   Parent Loop BB71_9 Depth=1
                                        ; =>  This Loop Header: Depth=2
                                        ;       Child Loop BB71_16 Depth 3
	s_delay_alu instid0(VALU_DEP_2) | instskip(SKIP_2) | instid1(VALU_DEP_2)
	v_dual_mov_b32 v21, 0 :: v_dual_add_nc_u32 v22, v18, v8
	v_dual_mov_b32 v19, 0 :: v_dual_mov_b32 v20, 0
	s_mov_b32 s19, exec_lo
	v_cmpx_lt_i32_e64 v22, v15
	s_cbranch_execz .LBB71_14
; %bb.13:                               ;   in Loop: Header=BB71_12 Depth=2
	global_load_b32 v21, v22, s[6:7] scale_offset
	s_wait_loadcnt 0x0
	v_subrev_nc_u32_e32 v21, s17, v21
	s_delay_alu instid0(VALU_DEP_1) | instskip(SKIP_1) | instid1(VALU_DEP_1)
	v_dual_lshlrev_b32 v19, 2, v22 :: v_dual_lshlrev_b32 v21, 1, v21
	s_wait_xcnt 0x0
	v_or_b32_e32 v22, v19, v12
	v_or_b32_e32 v23, v19, v13
	s_clause 0x1
	global_load_u16 v19, v22, s[8:9] scale_offset
	global_load_u16 v20, v23, s[8:9] scale_offset
.LBB71_14:                              ;   in Loop: Header=BB71_12 Depth=2
	s_wait_xcnt 0x0
	s_or_b32 exec_lo, exec_lo, s19
	ds_store_b32 v11, v21
	s_wait_loadcnt 0x1
	ds_store_b16 v16, v19
	s_wait_loadcnt 0x0
	ds_store_b16 v16, v20 offset:2
	s_wait_dscnt 0x0
	s_barrier_signal -1
	s_barrier_wait -1
	s_and_saveexec_b32 s1, vcc_lo
	s_cbranch_execz .LBB71_11
; %bb.15:                               ;   in Loop: Header=BB71_12 Depth=2
	v_mov_b32_e32 v19, v10
	s_mov_b32 s19, 0
.LBB71_16:                              ;   Parent Loop BB71_9 Depth=1
                                        ;     Parent Loop BB71_12 Depth=2
                                        ; =>    This Inner Loop Header: Depth=3
	s_delay_alu instid0(SALU_CYCLE_1) | instskip(SKIP_1) | instid1(SALU_CYCLE_1)
	v_add_nc_u32_e32 v20, s19, v9
	s_add_co_i32 s19, s19, 8
	s_cmp_lg_u32 s19, 0x80
	ds_load_b64 v[20:21], v20
	s_wait_dscnt 0x0
	v_dual_mov_b32 v22, v20 :: v_dual_ashrrev_i32 v23, 31, v20
	v_dual_add_nc_u32 v24, 1, v20 :: v_dual_ashrrev_i32 v27, 31, v21
	v_dual_mov_b32 v26, v21 :: v_dual_add_nc_u32 v20, 1, v21
	s_wait_kmcnt 0x0
	s_delay_alu instid0(VALU_DEP_3) | instskip(NEXT) | instid1(VALU_DEP_3)
	v_mul_u64_e32 v[22:23], s[4:5], v[22:23]
	v_ashrrev_i32_e32 v25, 31, v24
	s_delay_alu instid0(VALU_DEP_3) | instskip(SKIP_1) | instid1(VALU_DEP_3)
	v_mul_u64_e32 v[26:27], s[4:5], v[26:27]
	v_ashrrev_i32_e32 v21, 31, v20
	v_mul_u64_e32 v[24:25], s[4:5], v[24:25]
	s_delay_alu instid0(VALU_DEP_2)
	v_mul_u64_e32 v[20:21], s[4:5], v[20:21]
	v_lshl_add_u64 v[22:23], v[22:23], 1, v[6:7]
	global_load_u16 v28, v[22:23], off
	s_wait_xcnt 0x0
	v_lshl_add_u64 v[22:23], v[24:25], 1, v[6:7]
	v_lshl_add_u64 v[24:25], v[26:27], 1, v[6:7]
	;; [unrolled: 1-line block ×3, first 2 shown]
	s_clause 0x2
	global_load_u16 v22, v[22:23], off
	global_load_u16 v23, v[24:25], off
	;; [unrolled: 1-line block ×3, first 2 shown]
	s_wait_xcnt 0x0
	ds_load_b32 v20, v19
	ds_load_u16 v21, v19 offset:6
	ds_load_u16 v24, v19 offset:8
	v_add_nc_u32_e32 v19, 12, v19
	s_wait_loadcnt_dscnt 0x302
	v_fma_mix_f32 v17, v20, v28, v17 op_sel_hi:[1,1,0]
	s_wait_loadcnt 0x2
	s_delay_alu instid0(VALU_DEP_1) | instskip(SKIP_1) | instid1(VALU_DEP_1)
	v_fma_mix_f32 v17, v20, v22, v17 op_sel:[1,0,0] op_sel_hi:[1,1,0]
	s_wait_loadcnt_dscnt 0x101
	v_fma_mix_f32 v17, v21, v23, v17 op_sel_hi:[1,1,0]
	s_wait_loadcnt_dscnt 0x0
	s_delay_alu instid0(VALU_DEP_1)
	v_fma_mix_f32 v17, v24, v26, v17 op_sel_hi:[1,1,0]
	s_cbranch_scc1 .LBB71_16
	s_branch .LBB71_11
.LBB71_17:                              ;   in Loop: Header=BB71_9 Depth=1
	s_or_b32 exec_lo, exec_lo, s18
.LBB71_18:                              ;   in Loop: Header=BB71_9 Depth=1
	s_delay_alu instid0(SALU_CYCLE_1) | instskip(NEXT) | instid1(SALU_CYCLE_1)
	s_or_b32 exec_lo, exec_lo, s16
	s_mov_b32 s1, exec_lo
	v_cmpx_gt_i32_e64 s22, v4
	s_cbranch_execz .LBB71_8
; %bb.19:                               ;   in Loop: Header=BB71_9 Depth=1
	s_and_b32 vcc_lo, exec_lo, s3
	s_cbranch_vccz .LBB71_25
; %bb.20:                               ;   in Loop: Header=BB71_9 Depth=1
	s_and_b32 vcc_lo, exec_lo, s13
	s_mov_b32 s16, -1
	s_cbranch_vccz .LBB71_22
; %bb.21:                               ;   in Loop: Header=BB71_9 Depth=1
	v_lshl_add_u64 v[6:7], v[4:5], 2, v[2:3]
	v_mul_f32_e32 v19, s2, v17
	s_mov_b32 s16, 0
	global_load_b32 v18, v[6:7], off
	s_wait_loadcnt 0x0
	v_fmac_f32_e32 v19, s24, v18
	global_store_b32 v[6:7], v19, off
.LBB71_22:                              ;   in Loop: Header=BB71_9 Depth=1
	s_and_not1_b32 vcc_lo, exec_lo, s16
	s_cbranch_vccnz .LBB71_24
; %bb.23:                               ;   in Loop: Header=BB71_9 Depth=1
	s_wait_xcnt 0x0
	v_mul_u64_e32 v[6:7], s[14:15], v[4:5]
	v_mul_f32_e32 v19, s2, v17
	s_delay_alu instid0(VALU_DEP_2)
	v_lshl_add_u64 v[6:7], v[6:7], 2, v[0:1]
	global_load_b32 v18, v[6:7], off
	s_wait_loadcnt 0x0
	v_fmac_f32_e32 v19, s24, v18
	global_store_b32 v[6:7], v19, off
.LBB71_24:                              ;   in Loop: Header=BB71_9 Depth=1
	s_cbranch_execnz .LBB71_8
	s_branch .LBB71_26
.LBB71_25:                              ;   in Loop: Header=BB71_9 Depth=1
.LBB71_26:                              ;   in Loop: Header=BB71_9 Depth=1
	s_wait_xcnt 0x0
	v_mul_f32_e32 v6, s2, v17
	s_and_b32 vcc_lo, exec_lo, s13
	s_mov_b32 s16, -1
	s_cbranch_vccz .LBB71_28
; %bb.27:                               ;   in Loop: Header=BB71_9 Depth=1
	v_lshl_add_u64 v[18:19], v[4:5], 2, v[2:3]
	s_mov_b32 s16, 0
	global_store_b32 v[18:19], v6, off
.LBB71_28:                              ;   in Loop: Header=BB71_9 Depth=1
	s_and_not1_b32 vcc_lo, exec_lo, s16
	s_cbranch_vccnz .LBB71_8
; %bb.29:                               ;   in Loop: Header=BB71_9 Depth=1
	v_mul_u64_e32 v[4:5], s[14:15], v[4:5]
	s_delay_alu instid0(VALU_DEP_1)
	v_lshl_add_u64 v[4:5], v[4:5], 2, v[0:1]
	global_store_b32 v[4:5], v6, off
	s_branch .LBB71_8
.LBB71_30:
	s_endpgm
	.section	.rodata,"a",@progbits
	.p2align	6, 0x0
	.amdhsa_kernel _ZN9rocsparseL29bsrmmnt_small_blockdim_kernelILj64ELj32ELj2EiiDF16_DF16_ffEEv20rocsparse_direction_T3_S2_llNS_24const_host_device_scalarIT7_EEPKT2_PKS2_PKT4_PKT5_llS5_PT6_ll16rocsparse_order_21rocsparse_index_base_b
		.amdhsa_group_segment_fixed_size 640
		.amdhsa_private_segment_fixed_size 0
		.amdhsa_kernarg_size 392
		.amdhsa_user_sgpr_count 2
		.amdhsa_user_sgpr_dispatch_ptr 0
		.amdhsa_user_sgpr_queue_ptr 0
		.amdhsa_user_sgpr_kernarg_segment_ptr 1
		.amdhsa_user_sgpr_dispatch_id 0
		.amdhsa_user_sgpr_kernarg_preload_length 0
		.amdhsa_user_sgpr_kernarg_preload_offset 0
		.amdhsa_user_sgpr_private_segment_size 0
		.amdhsa_wavefront_size32 1
		.amdhsa_uses_dynamic_stack 0
		.amdhsa_enable_private_segment 0
		.amdhsa_system_sgpr_workgroup_id_x 1
		.amdhsa_system_sgpr_workgroup_id_y 0
		.amdhsa_system_sgpr_workgroup_id_z 0
		.amdhsa_system_sgpr_workgroup_info 0
		.amdhsa_system_vgpr_workitem_id 0
		.amdhsa_next_free_vgpr 29
		.amdhsa_next_free_sgpr 26
		.amdhsa_named_barrier_count 0
		.amdhsa_reserve_vcc 1
		.amdhsa_float_round_mode_32 0
		.amdhsa_float_round_mode_16_64 0
		.amdhsa_float_denorm_mode_32 3
		.amdhsa_float_denorm_mode_16_64 3
		.amdhsa_fp16_overflow 0
		.amdhsa_memory_ordered 1
		.amdhsa_forward_progress 1
		.amdhsa_inst_pref_size 11
		.amdhsa_round_robin_scheduling 0
		.amdhsa_exception_fp_ieee_invalid_op 0
		.amdhsa_exception_fp_denorm_src 0
		.amdhsa_exception_fp_ieee_div_zero 0
		.amdhsa_exception_fp_ieee_overflow 0
		.amdhsa_exception_fp_ieee_underflow 0
		.amdhsa_exception_fp_ieee_inexact 0
		.amdhsa_exception_int_div_zero 0
	.end_amdhsa_kernel
	.section	.text._ZN9rocsparseL29bsrmmnt_small_blockdim_kernelILj64ELj32ELj2EiiDF16_DF16_ffEEv20rocsparse_direction_T3_S2_llNS_24const_host_device_scalarIT7_EEPKT2_PKS2_PKT4_PKT5_llS5_PT6_ll16rocsparse_order_21rocsparse_index_base_b,"axG",@progbits,_ZN9rocsparseL29bsrmmnt_small_blockdim_kernelILj64ELj32ELj2EiiDF16_DF16_ffEEv20rocsparse_direction_T3_S2_llNS_24const_host_device_scalarIT7_EEPKT2_PKS2_PKT4_PKT5_llS5_PT6_ll16rocsparse_order_21rocsparse_index_base_b,comdat
.Lfunc_end71:
	.size	_ZN9rocsparseL29bsrmmnt_small_blockdim_kernelILj64ELj32ELj2EiiDF16_DF16_ffEEv20rocsparse_direction_T3_S2_llNS_24const_host_device_scalarIT7_EEPKT2_PKS2_PKT4_PKT5_llS5_PT6_ll16rocsparse_order_21rocsparse_index_base_b, .Lfunc_end71-_ZN9rocsparseL29bsrmmnt_small_blockdim_kernelILj64ELj32ELj2EiiDF16_DF16_ffEEv20rocsparse_direction_T3_S2_llNS_24const_host_device_scalarIT7_EEPKT2_PKS2_PKT4_PKT5_llS5_PT6_ll16rocsparse_order_21rocsparse_index_base_b
                                        ; -- End function
	.set _ZN9rocsparseL29bsrmmnt_small_blockdim_kernelILj64ELj32ELj2EiiDF16_DF16_ffEEv20rocsparse_direction_T3_S2_llNS_24const_host_device_scalarIT7_EEPKT2_PKS2_PKT4_PKT5_llS5_PT6_ll16rocsparse_order_21rocsparse_index_base_b.num_vgpr, 29
	.set _ZN9rocsparseL29bsrmmnt_small_blockdim_kernelILj64ELj32ELj2EiiDF16_DF16_ffEEv20rocsparse_direction_T3_S2_llNS_24const_host_device_scalarIT7_EEPKT2_PKS2_PKT4_PKT5_llS5_PT6_ll16rocsparse_order_21rocsparse_index_base_b.num_agpr, 0
	.set _ZN9rocsparseL29bsrmmnt_small_blockdim_kernelILj64ELj32ELj2EiiDF16_DF16_ffEEv20rocsparse_direction_T3_S2_llNS_24const_host_device_scalarIT7_EEPKT2_PKS2_PKT4_PKT5_llS5_PT6_ll16rocsparse_order_21rocsparse_index_base_b.numbered_sgpr, 26
	.set _ZN9rocsparseL29bsrmmnt_small_blockdim_kernelILj64ELj32ELj2EiiDF16_DF16_ffEEv20rocsparse_direction_T3_S2_llNS_24const_host_device_scalarIT7_EEPKT2_PKS2_PKT4_PKT5_llS5_PT6_ll16rocsparse_order_21rocsparse_index_base_b.num_named_barrier, 0
	.set _ZN9rocsparseL29bsrmmnt_small_blockdim_kernelILj64ELj32ELj2EiiDF16_DF16_ffEEv20rocsparse_direction_T3_S2_llNS_24const_host_device_scalarIT7_EEPKT2_PKS2_PKT4_PKT5_llS5_PT6_ll16rocsparse_order_21rocsparse_index_base_b.private_seg_size, 0
	.set _ZN9rocsparseL29bsrmmnt_small_blockdim_kernelILj64ELj32ELj2EiiDF16_DF16_ffEEv20rocsparse_direction_T3_S2_llNS_24const_host_device_scalarIT7_EEPKT2_PKS2_PKT4_PKT5_llS5_PT6_ll16rocsparse_order_21rocsparse_index_base_b.uses_vcc, 1
	.set _ZN9rocsparseL29bsrmmnt_small_blockdim_kernelILj64ELj32ELj2EiiDF16_DF16_ffEEv20rocsparse_direction_T3_S2_llNS_24const_host_device_scalarIT7_EEPKT2_PKS2_PKT4_PKT5_llS5_PT6_ll16rocsparse_order_21rocsparse_index_base_b.uses_flat_scratch, 0
	.set _ZN9rocsparseL29bsrmmnt_small_blockdim_kernelILj64ELj32ELj2EiiDF16_DF16_ffEEv20rocsparse_direction_T3_S2_llNS_24const_host_device_scalarIT7_EEPKT2_PKS2_PKT4_PKT5_llS5_PT6_ll16rocsparse_order_21rocsparse_index_base_b.has_dyn_sized_stack, 0
	.set _ZN9rocsparseL29bsrmmnt_small_blockdim_kernelILj64ELj32ELj2EiiDF16_DF16_ffEEv20rocsparse_direction_T3_S2_llNS_24const_host_device_scalarIT7_EEPKT2_PKS2_PKT4_PKT5_llS5_PT6_ll16rocsparse_order_21rocsparse_index_base_b.has_recursion, 0
	.set _ZN9rocsparseL29bsrmmnt_small_blockdim_kernelILj64ELj32ELj2EiiDF16_DF16_ffEEv20rocsparse_direction_T3_S2_llNS_24const_host_device_scalarIT7_EEPKT2_PKS2_PKT4_PKT5_llS5_PT6_ll16rocsparse_order_21rocsparse_index_base_b.has_indirect_call, 0
	.section	.AMDGPU.csdata,"",@progbits
; Kernel info:
; codeLenInByte = 1296
; TotalNumSgprs: 28
; NumVgprs: 29
; ScratchSize: 0
; MemoryBound: 0
; FloatMode: 240
; IeeeMode: 1
; LDSByteSize: 640 bytes/workgroup (compile time only)
; SGPRBlocks: 0
; VGPRBlocks: 1
; NumSGPRsForWavesPerEU: 28
; NumVGPRsForWavesPerEU: 29
; NamedBarCnt: 0
; Occupancy: 16
; WaveLimiterHint : 0
; COMPUTE_PGM_RSRC2:SCRATCH_EN: 0
; COMPUTE_PGM_RSRC2:USER_SGPR: 2
; COMPUTE_PGM_RSRC2:TRAP_HANDLER: 0
; COMPUTE_PGM_RSRC2:TGID_X_EN: 1
; COMPUTE_PGM_RSRC2:TGID_Y_EN: 0
; COMPUTE_PGM_RSRC2:TGID_Z_EN: 0
; COMPUTE_PGM_RSRC2:TIDIG_COMP_CNT: 0
	.section	.text._ZN9rocsparseL29bsrmmnt_small_blockdim_kernelILj64ELj64ELj2EiiDF16_DF16_ffEEv20rocsparse_direction_T3_S2_llNS_24const_host_device_scalarIT7_EEPKT2_PKS2_PKT4_PKT5_llS5_PT6_ll16rocsparse_order_21rocsparse_index_base_b,"axG",@progbits,_ZN9rocsparseL29bsrmmnt_small_blockdim_kernelILj64ELj64ELj2EiiDF16_DF16_ffEEv20rocsparse_direction_T3_S2_llNS_24const_host_device_scalarIT7_EEPKT2_PKS2_PKT4_PKT5_llS5_PT6_ll16rocsparse_order_21rocsparse_index_base_b,comdat
	.globl	_ZN9rocsparseL29bsrmmnt_small_blockdim_kernelILj64ELj64ELj2EiiDF16_DF16_ffEEv20rocsparse_direction_T3_S2_llNS_24const_host_device_scalarIT7_EEPKT2_PKS2_PKT4_PKT5_llS5_PT6_ll16rocsparse_order_21rocsparse_index_base_b ; -- Begin function _ZN9rocsparseL29bsrmmnt_small_blockdim_kernelILj64ELj64ELj2EiiDF16_DF16_ffEEv20rocsparse_direction_T3_S2_llNS_24const_host_device_scalarIT7_EEPKT2_PKS2_PKT4_PKT5_llS5_PT6_ll16rocsparse_order_21rocsparse_index_base_b
	.p2align	8
	.type	_ZN9rocsparseL29bsrmmnt_small_blockdim_kernelILj64ELj64ELj2EiiDF16_DF16_ffEEv20rocsparse_direction_T3_S2_llNS_24const_host_device_scalarIT7_EEPKT2_PKS2_PKT4_PKT5_llS5_PT6_ll16rocsparse_order_21rocsparse_index_base_b,@function
_ZN9rocsparseL29bsrmmnt_small_blockdim_kernelILj64ELj64ELj2EiiDF16_DF16_ffEEv20rocsparse_direction_T3_S2_llNS_24const_host_device_scalarIT7_EEPKT2_PKS2_PKT4_PKT5_llS5_PT6_ll16rocsparse_order_21rocsparse_index_base_b: ; @_ZN9rocsparseL29bsrmmnt_small_blockdim_kernelILj64ELj64ELj2EiiDF16_DF16_ffEEv20rocsparse_direction_T3_S2_llNS_24const_host_device_scalarIT7_EEPKT2_PKS2_PKT4_PKT5_llS5_PT6_ll16rocsparse_order_21rocsparse_index_base_b
; %bb.0:
	s_clause 0x2
	s_load_b96 s[16:18], s[0:1], 0x78
	s_load_b64 s[2:3], s[0:1], 0x20
	s_load_b64 s[24:25], s[0:1], 0x58
	s_wait_kmcnt 0x0
	s_bitcmp1_b32 s18, 0
	s_cselect_b32 s4, -1, 0
	s_delay_alu instid0(SALU_CYCLE_1)
	s_and_b32 vcc_lo, exec_lo, s4
	s_xor_b32 s4, s4, -1
	s_cbranch_vccnz .LBB72_2
; %bb.1:
	s_load_b32 s2, s[2:3], 0x0
.LBB72_2:
	s_and_not1_b32 vcc_lo, exec_lo, s4
	s_cbranch_vccnz .LBB72_4
; %bb.3:
	s_load_b32 s24, s[24:25], 0x0
.LBB72_4:
	s_wait_kmcnt 0x0
	s_cmp_eq_f32 s2, 0
	s_cselect_b32 s3, -1, 0
	s_cmp_eq_f32 s24, 1.0
	s_cselect_b32 s4, -1, 0
	s_delay_alu instid0(SALU_CYCLE_1) | instskip(NEXT) | instid1(SALU_CYCLE_1)
	s_and_b32 s3, s3, s4
	s_and_b32 vcc_lo, exec_lo, s3
	s_cbranch_vccnz .LBB72_30
; %bb.5:
	s_clause 0x1
	s_load_b32 s3, s[0:1], 0x94
	s_load_b96 s[20:22], s[0:1], 0x0
	s_bfe_u32 s4, ttmp6, 0x4000c
	s_and_b32 s5, ttmp6, 15
	s_add_co_i32 s4, s4, 1
	s_getreg_b32 s6, hwreg(HW_REG_IB_STS2, 6, 4)
	s_mul_i32 s4, ttmp9, s4
	s_delay_alu instid0(SALU_CYCLE_1) | instskip(SKIP_4) | instid1(SALU_CYCLE_1)
	s_add_co_i32 s5, s5, s4
	s_wait_kmcnt 0x0
	s_and_b32 s3, s3, 0xffff
	s_cmp_eq_u32 s6, 0
	s_cselect_b32 s4, ttmp9, s5
	v_mad_u32 v1, s4, s3, v0
	s_mov_b32 s3, exec_lo
	s_delay_alu instid0(VALU_DEP_1) | instskip(NEXT) | instid1(VALU_DEP_1)
	v_lshrrev_b32_e32 v2, 7, v1
	v_cmpx_gt_i32_e64 s21, v2
	s_cbranch_execz .LBB72_30
; %bb.6:
	s_cmp_lt_i32 s22, 1
	s_cbranch_scc1 .LBB72_30
; %bb.7:
	s_load_b256 s[4:11], s[0:1], 0x28
	v_dual_mov_b32 v3, 0 :: v_dual_lshlrev_b32 v2, 2, v2
	s_load_b128 s[12:15], s[0:1], 0x60
	v_bfe_u32 v8, v1, 6, 1
	s_cmp_eq_u32 s20, 0
	v_mul_u32_u24_e32 v10, 6, v0
	s_cselect_b32 vcc_lo, -1, 0
	s_cmp_neq_f32 s24, 0
	v_dual_lshlrev_b32 v9, 1, v8 :: v_dual_bitop2_b32 v14, 2, v8 bitop3:0x54
	s_cselect_b32 s3, -1, 0
	s_cmp_lg_u32 s16, 1
	s_delay_alu instid0(VALU_DEP_1) | instskip(NEXT) | instid1(VALU_DEP_1)
	v_dual_cndmask_b32 v11, v8, v9, vcc_lo :: v_dual_bitop2_b32 v15, 1, v9 bitop3:0x54
	v_cndmask_b32_e32 v14, v14, v15, vcc_lo
	s_wait_kmcnt 0x0
	global_load_b64 v[6:7], v2, s[4:5]
	s_wait_xcnt 0x0
	v_lshrrev_b32_e32 v2, 6, v1
	s_load_b64 s[4:5], s[0:1], 0x48
	v_lshl_add_u32 v1, v0, 2, 0x180
	s_delay_alu instid0(VALU_DEP_2) | instskip(SKIP_1) | instid1(VALU_DEP_1)
	v_mul_u64_e32 v[4:5], s[14:15], v[2:3]
	v_lshlrev_b32_e32 v2, 2, v2
	v_add_nc_u64_e32 v[2:3], s[12:13], v[2:3]
	s_delay_alu instid0(VALU_DEP_3)
	v_lshl_add_u64 v[4:5], v[4:5], 2, s[12:13]
	s_mov_b32 s12, 0
	s_cselect_b32 s13, -1, 0
	s_wait_loadcnt 0x0
	v_subrev_nc_u32_e32 v12, s17, v6
	v_subrev_nc_u32_e32 v13, s17, v7
	s_wait_xcnt 0x0
	v_cmp_lt_i32_e64 s0, v6, v7
	s_branch .LBB72_9
.LBB72_8:                               ;   in Loop: Header=BB72_9 Depth=1
	s_wait_xcnt 0x0
	s_or_b32 exec_lo, exec_lo, s1
	s_add_co_i32 s12, s12, 64
	s_delay_alu instid0(SALU_CYCLE_1)
	s_cmp_lt_i32 s12, s22
	s_cbranch_scc0 .LBB72_30
.LBB72_9:                               ; =>This Loop Header: Depth=1
                                        ;     Child Loop BB72_12 Depth 2
                                        ;       Child Loop BB72_16 Depth 3
	v_dual_mov_b32 v15, 0 :: v_dual_bitop2_b32 v6, s12, v0 bitop3:0x54
	s_delay_alu instid0(VALU_DEP_1) | instskip(NEXT) | instid1(VALU_DEP_3)
	v_ashrrev_i32_e32 v7, 31, v6
	s_and_saveexec_b32 s16, s0
	s_cbranch_execz .LBB72_18
; %bb.10:                               ;   in Loop: Header=BB72_9 Depth=1
	s_delay_alu instid0(VALU_DEP_1)
	v_lshl_add_u64 v[8:9], v[6:7], 1, s[10:11]
	v_dual_mov_b32 v15, 0 :: v_dual_mov_b32 v16, v12
	s_mov_b32 s18, 0
	v_cmp_gt_i32_e32 vcc_lo, s22, v6
	s_branch .LBB72_12
.LBB72_11:                              ;   in Loop: Header=BB72_12 Depth=2
	s_or_b32 exec_lo, exec_lo, s1
	v_add_nc_u32_e32 v16, 64, v16
	s_delay_alu instid0(VALU_DEP_1) | instskip(SKIP_1) | instid1(SALU_CYCLE_1)
	v_cmp_ge_i32_e64 s1, v16, v13
	s_or_b32 s18, s1, s18
	s_and_not1_b32 exec_lo, exec_lo, s18
	s_cbranch_execz .LBB72_17
.LBB72_12:                              ;   Parent Loop BB72_9 Depth=1
                                        ; =>  This Loop Header: Depth=2
                                        ;       Child Loop BB72_16 Depth 3
	s_delay_alu instid0(VALU_DEP_2) | instskip(SKIP_2) | instid1(VALU_DEP_2)
	v_dual_mov_b32 v19, 0 :: v_dual_add_nc_u32 v20, v16, v0
	v_dual_mov_b32 v17, 0 :: v_dual_mov_b32 v18, 0
	s_mov_b32 s19, exec_lo
	v_cmpx_lt_i32_e64 v20, v13
	s_cbranch_execz .LBB72_14
; %bb.13:                               ;   in Loop: Header=BB72_12 Depth=2
	global_load_b32 v19, v20, s[6:7] scale_offset
	s_wait_loadcnt 0x0
	v_subrev_nc_u32_e32 v19, s17, v19
	s_delay_alu instid0(VALU_DEP_1) | instskip(SKIP_1) | instid1(VALU_DEP_1)
	v_dual_lshlrev_b32 v17, 2, v20 :: v_dual_lshlrev_b32 v19, 1, v19
	s_wait_xcnt 0x0
	v_or_b32_e32 v20, v17, v11
	v_or_b32_e32 v21, v17, v14
	s_clause 0x1
	global_load_u16 v17, v20, s[8:9] scale_offset
	global_load_u16 v18, v21, s[8:9] scale_offset
.LBB72_14:                              ;   in Loop: Header=BB72_12 Depth=2
	s_wait_xcnt 0x0
	s_or_b32 exec_lo, exec_lo, s19
	ds_store_b32 v1, v19
	s_wait_loadcnt 0x1
	ds_store_b16 v10, v17
	s_wait_loadcnt 0x0
	ds_store_b16 v10, v18 offset:2
	s_wait_dscnt 0x0
	s_barrier_signal -1
	s_barrier_wait -1
	s_and_saveexec_b32 s1, vcc_lo
	s_cbranch_execz .LBB72_11
; %bb.15:                               ;   in Loop: Header=BB72_12 Depth=2
	v_mov_b32_e32 v17, 0
	s_mov_b32 s19, 0
.LBB72_16:                              ;   Parent Loop BB72_9 Depth=1
                                        ;     Parent Loop BB72_12 Depth=2
                                        ; =>    This Inner Loop Header: Depth=3
	s_delay_alu instid0(SALU_CYCLE_1) | instskip(SKIP_1) | instid1(SALU_CYCLE_1)
	v_add_nc_u32_e64 v18, 0x180, s19
	s_add_co_i32 s19, s19, 8
	s_cmp_lg_u32 s19, 0x100
	ds_load_b64 v[18:19], v18
	s_wait_dscnt 0x0
	v_dual_mov_b32 v20, v18 :: v_dual_ashrrev_i32 v21, 31, v18
	v_dual_add_nc_u32 v22, 1, v18 :: v_dual_ashrrev_i32 v25, 31, v19
	v_dual_add_nc_u32 v18, 1, v19 :: v_dual_mov_b32 v24, v19
	s_wait_kmcnt 0x0
	s_delay_alu instid0(VALU_DEP_3) | instskip(NEXT) | instid1(VALU_DEP_3)
	v_mul_u64_e32 v[20:21], s[4:5], v[20:21]
	v_ashrrev_i32_e32 v23, 31, v22
	s_delay_alu instid0(VALU_DEP_3) | instskip(SKIP_1) | instid1(VALU_DEP_3)
	v_ashrrev_i32_e32 v19, 31, v18
	v_mul_u64_e32 v[24:25], s[4:5], v[24:25]
	v_mul_u64_e32 v[22:23], s[4:5], v[22:23]
	s_delay_alu instid0(VALU_DEP_3)
	v_mul_u64_e32 v[18:19], s[4:5], v[18:19]
	v_lshl_add_u64 v[20:21], v[20:21], 1, v[8:9]
	global_load_u16 v26, v[20:21], off
	s_wait_xcnt 0x0
	v_lshl_add_u64 v[20:21], v[22:23], 1, v[8:9]
	v_lshl_add_u64 v[22:23], v[24:25], 1, v[8:9]
	;; [unrolled: 1-line block ×3, first 2 shown]
	s_clause 0x2
	global_load_u16 v20, v[20:21], off
	global_load_u16 v21, v[22:23], off
	;; [unrolled: 1-line block ×3, first 2 shown]
	s_wait_xcnt 0x0
	ds_load_b32 v18, v17
	ds_load_u16 v19, v17 offset:6
	ds_load_u16 v22, v17 offset:8
	v_add_nc_u32_e32 v17, 12, v17
	s_wait_loadcnt_dscnt 0x302
	v_fma_mix_f32 v15, v18, v26, v15 op_sel_hi:[1,1,0]
	s_wait_loadcnt 0x2
	s_delay_alu instid0(VALU_DEP_1) | instskip(SKIP_1) | instid1(VALU_DEP_1)
	v_fma_mix_f32 v15, v18, v20, v15 op_sel:[1,0,0] op_sel_hi:[1,1,0]
	s_wait_loadcnt_dscnt 0x101
	v_fma_mix_f32 v15, v19, v21, v15 op_sel_hi:[1,1,0]
	s_wait_loadcnt_dscnt 0x0
	s_delay_alu instid0(VALU_DEP_1)
	v_fma_mix_f32 v15, v22, v24, v15 op_sel_hi:[1,1,0]
	s_cbranch_scc1 .LBB72_16
	s_branch .LBB72_11
.LBB72_17:                              ;   in Loop: Header=BB72_9 Depth=1
	s_or_b32 exec_lo, exec_lo, s18
.LBB72_18:                              ;   in Loop: Header=BB72_9 Depth=1
	s_delay_alu instid0(SALU_CYCLE_1) | instskip(NEXT) | instid1(SALU_CYCLE_1)
	s_or_b32 exec_lo, exec_lo, s16
	s_mov_b32 s1, exec_lo
	v_cmpx_gt_i32_e64 s22, v6
	s_cbranch_execz .LBB72_8
; %bb.19:                               ;   in Loop: Header=BB72_9 Depth=1
	s_and_b32 vcc_lo, exec_lo, s3
	s_cbranch_vccz .LBB72_25
; %bb.20:                               ;   in Loop: Header=BB72_9 Depth=1
	s_and_b32 vcc_lo, exec_lo, s13
	s_mov_b32 s16, -1
	s_cbranch_vccz .LBB72_22
; %bb.21:                               ;   in Loop: Header=BB72_9 Depth=1
	v_lshl_add_u64 v[8:9], v[6:7], 2, v[4:5]
	v_mul_f32_e32 v17, s2, v15
	s_mov_b32 s16, 0
	global_load_b32 v16, v[8:9], off
	s_wait_loadcnt 0x0
	v_fmac_f32_e32 v17, s24, v16
	global_store_b32 v[8:9], v17, off
.LBB72_22:                              ;   in Loop: Header=BB72_9 Depth=1
	s_and_not1_b32 vcc_lo, exec_lo, s16
	s_cbranch_vccnz .LBB72_24
; %bb.23:                               ;   in Loop: Header=BB72_9 Depth=1
	s_wait_xcnt 0x0
	v_mul_u64_e32 v[8:9], s[14:15], v[6:7]
	v_mul_f32_e32 v17, s2, v15
	s_delay_alu instid0(VALU_DEP_2)
	v_lshl_add_u64 v[8:9], v[8:9], 2, v[2:3]
	global_load_b32 v16, v[8:9], off
	s_wait_loadcnt 0x0
	v_fmac_f32_e32 v17, s24, v16
	global_store_b32 v[8:9], v17, off
.LBB72_24:                              ;   in Loop: Header=BB72_9 Depth=1
	s_cbranch_execnz .LBB72_8
	s_branch .LBB72_26
.LBB72_25:                              ;   in Loop: Header=BB72_9 Depth=1
.LBB72_26:                              ;   in Loop: Header=BB72_9 Depth=1
	s_wait_xcnt 0x0
	v_mul_f32_e32 v8, s2, v15
	s_and_b32 vcc_lo, exec_lo, s13
	s_mov_b32 s16, -1
	s_cbranch_vccz .LBB72_28
; %bb.27:                               ;   in Loop: Header=BB72_9 Depth=1
	v_lshl_add_u64 v[16:17], v[6:7], 2, v[4:5]
	s_mov_b32 s16, 0
	global_store_b32 v[16:17], v8, off
.LBB72_28:                              ;   in Loop: Header=BB72_9 Depth=1
	s_and_not1_b32 vcc_lo, exec_lo, s16
	s_cbranch_vccnz .LBB72_8
; %bb.29:                               ;   in Loop: Header=BB72_9 Depth=1
	v_mul_u64_e32 v[6:7], s[14:15], v[6:7]
	s_delay_alu instid0(VALU_DEP_1)
	v_lshl_add_u64 v[6:7], v[6:7], 2, v[2:3]
	global_store_b32 v[6:7], v8, off
	s_branch .LBB72_8
.LBB72_30:
	s_endpgm
	.section	.rodata,"a",@progbits
	.p2align	6, 0x0
	.amdhsa_kernel _ZN9rocsparseL29bsrmmnt_small_blockdim_kernelILj64ELj64ELj2EiiDF16_DF16_ffEEv20rocsparse_direction_T3_S2_llNS_24const_host_device_scalarIT7_EEPKT2_PKS2_PKT4_PKT5_llS5_PT6_ll16rocsparse_order_21rocsparse_index_base_b
		.amdhsa_group_segment_fixed_size 640
		.amdhsa_private_segment_fixed_size 0
		.amdhsa_kernarg_size 392
		.amdhsa_user_sgpr_count 2
		.amdhsa_user_sgpr_dispatch_ptr 0
		.amdhsa_user_sgpr_queue_ptr 0
		.amdhsa_user_sgpr_kernarg_segment_ptr 1
		.amdhsa_user_sgpr_dispatch_id 0
		.amdhsa_user_sgpr_kernarg_preload_length 0
		.amdhsa_user_sgpr_kernarg_preload_offset 0
		.amdhsa_user_sgpr_private_segment_size 0
		.amdhsa_wavefront_size32 1
		.amdhsa_uses_dynamic_stack 0
		.amdhsa_enable_private_segment 0
		.amdhsa_system_sgpr_workgroup_id_x 1
		.amdhsa_system_sgpr_workgroup_id_y 0
		.amdhsa_system_sgpr_workgroup_id_z 0
		.amdhsa_system_sgpr_workgroup_info 0
		.amdhsa_system_vgpr_workitem_id 0
		.amdhsa_next_free_vgpr 27
		.amdhsa_next_free_sgpr 26
		.amdhsa_named_barrier_count 0
		.amdhsa_reserve_vcc 1
		.amdhsa_float_round_mode_32 0
		.amdhsa_float_round_mode_16_64 0
		.amdhsa_float_denorm_mode_32 3
		.amdhsa_float_denorm_mode_16_64 3
		.amdhsa_fp16_overflow 0
		.amdhsa_memory_ordered 1
		.amdhsa_forward_progress 1
		.amdhsa_inst_pref_size 10
		.amdhsa_round_robin_scheduling 0
		.amdhsa_exception_fp_ieee_invalid_op 0
		.amdhsa_exception_fp_denorm_src 0
		.amdhsa_exception_fp_ieee_div_zero 0
		.amdhsa_exception_fp_ieee_overflow 0
		.amdhsa_exception_fp_ieee_underflow 0
		.amdhsa_exception_fp_ieee_inexact 0
		.amdhsa_exception_int_div_zero 0
	.end_amdhsa_kernel
	.section	.text._ZN9rocsparseL29bsrmmnt_small_blockdim_kernelILj64ELj64ELj2EiiDF16_DF16_ffEEv20rocsparse_direction_T3_S2_llNS_24const_host_device_scalarIT7_EEPKT2_PKS2_PKT4_PKT5_llS5_PT6_ll16rocsparse_order_21rocsparse_index_base_b,"axG",@progbits,_ZN9rocsparseL29bsrmmnt_small_blockdim_kernelILj64ELj64ELj2EiiDF16_DF16_ffEEv20rocsparse_direction_T3_S2_llNS_24const_host_device_scalarIT7_EEPKT2_PKS2_PKT4_PKT5_llS5_PT6_ll16rocsparse_order_21rocsparse_index_base_b,comdat
.Lfunc_end72:
	.size	_ZN9rocsparseL29bsrmmnt_small_blockdim_kernelILj64ELj64ELj2EiiDF16_DF16_ffEEv20rocsparse_direction_T3_S2_llNS_24const_host_device_scalarIT7_EEPKT2_PKS2_PKT4_PKT5_llS5_PT6_ll16rocsparse_order_21rocsparse_index_base_b, .Lfunc_end72-_ZN9rocsparseL29bsrmmnt_small_blockdim_kernelILj64ELj64ELj2EiiDF16_DF16_ffEEv20rocsparse_direction_T3_S2_llNS_24const_host_device_scalarIT7_EEPKT2_PKS2_PKT4_PKT5_llS5_PT6_ll16rocsparse_order_21rocsparse_index_base_b
                                        ; -- End function
	.set _ZN9rocsparseL29bsrmmnt_small_blockdim_kernelILj64ELj64ELj2EiiDF16_DF16_ffEEv20rocsparse_direction_T3_S2_llNS_24const_host_device_scalarIT7_EEPKT2_PKS2_PKT4_PKT5_llS5_PT6_ll16rocsparse_order_21rocsparse_index_base_b.num_vgpr, 27
	.set _ZN9rocsparseL29bsrmmnt_small_blockdim_kernelILj64ELj64ELj2EiiDF16_DF16_ffEEv20rocsparse_direction_T3_S2_llNS_24const_host_device_scalarIT7_EEPKT2_PKS2_PKT4_PKT5_llS5_PT6_ll16rocsparse_order_21rocsparse_index_base_b.num_agpr, 0
	.set _ZN9rocsparseL29bsrmmnt_small_blockdim_kernelILj64ELj64ELj2EiiDF16_DF16_ffEEv20rocsparse_direction_T3_S2_llNS_24const_host_device_scalarIT7_EEPKT2_PKS2_PKT4_PKT5_llS5_PT6_ll16rocsparse_order_21rocsparse_index_base_b.numbered_sgpr, 26
	.set _ZN9rocsparseL29bsrmmnt_small_blockdim_kernelILj64ELj64ELj2EiiDF16_DF16_ffEEv20rocsparse_direction_T3_S2_llNS_24const_host_device_scalarIT7_EEPKT2_PKS2_PKT4_PKT5_llS5_PT6_ll16rocsparse_order_21rocsparse_index_base_b.num_named_barrier, 0
	.set _ZN9rocsparseL29bsrmmnt_small_blockdim_kernelILj64ELj64ELj2EiiDF16_DF16_ffEEv20rocsparse_direction_T3_S2_llNS_24const_host_device_scalarIT7_EEPKT2_PKS2_PKT4_PKT5_llS5_PT6_ll16rocsparse_order_21rocsparse_index_base_b.private_seg_size, 0
	.set _ZN9rocsparseL29bsrmmnt_small_blockdim_kernelILj64ELj64ELj2EiiDF16_DF16_ffEEv20rocsparse_direction_T3_S2_llNS_24const_host_device_scalarIT7_EEPKT2_PKS2_PKT4_PKT5_llS5_PT6_ll16rocsparse_order_21rocsparse_index_base_b.uses_vcc, 1
	.set _ZN9rocsparseL29bsrmmnt_small_blockdim_kernelILj64ELj64ELj2EiiDF16_DF16_ffEEv20rocsparse_direction_T3_S2_llNS_24const_host_device_scalarIT7_EEPKT2_PKS2_PKT4_PKT5_llS5_PT6_ll16rocsparse_order_21rocsparse_index_base_b.uses_flat_scratch, 0
	.set _ZN9rocsparseL29bsrmmnt_small_blockdim_kernelILj64ELj64ELj2EiiDF16_DF16_ffEEv20rocsparse_direction_T3_S2_llNS_24const_host_device_scalarIT7_EEPKT2_PKS2_PKT4_PKT5_llS5_PT6_ll16rocsparse_order_21rocsparse_index_base_b.has_dyn_sized_stack, 0
	.set _ZN9rocsparseL29bsrmmnt_small_blockdim_kernelILj64ELj64ELj2EiiDF16_DF16_ffEEv20rocsparse_direction_T3_S2_llNS_24const_host_device_scalarIT7_EEPKT2_PKS2_PKT4_PKT5_llS5_PT6_ll16rocsparse_order_21rocsparse_index_base_b.has_recursion, 0
	.set _ZN9rocsparseL29bsrmmnt_small_blockdim_kernelILj64ELj64ELj2EiiDF16_DF16_ffEEv20rocsparse_direction_T3_S2_llNS_24const_host_device_scalarIT7_EEPKT2_PKS2_PKT4_PKT5_llS5_PT6_ll16rocsparse_order_21rocsparse_index_base_b.has_indirect_call, 0
	.section	.AMDGPU.csdata,"",@progbits
; Kernel info:
; codeLenInByte = 1272
; TotalNumSgprs: 28
; NumVgprs: 27
; ScratchSize: 0
; MemoryBound: 0
; FloatMode: 240
; IeeeMode: 1
; LDSByteSize: 640 bytes/workgroup (compile time only)
; SGPRBlocks: 0
; VGPRBlocks: 1
; NumSGPRsForWavesPerEU: 28
; NumVGPRsForWavesPerEU: 27
; NamedBarCnt: 0
; Occupancy: 16
; WaveLimiterHint : 0
; COMPUTE_PGM_RSRC2:SCRATCH_EN: 0
; COMPUTE_PGM_RSRC2:USER_SGPR: 2
; COMPUTE_PGM_RSRC2:TRAP_HANDLER: 0
; COMPUTE_PGM_RSRC2:TGID_X_EN: 1
; COMPUTE_PGM_RSRC2:TGID_Y_EN: 0
; COMPUTE_PGM_RSRC2:TGID_Z_EN: 0
; COMPUTE_PGM_RSRC2:TIDIG_COMP_CNT: 0
	.section	.text._ZN9rocsparseL29bsrmmnt_small_blockdim_kernelILj64ELj8ELj2EliDF16_DF16_ffEEv20rocsparse_direction_T3_S2_llNS_24const_host_device_scalarIT7_EEPKT2_PKS2_PKT4_PKT5_llS5_PT6_ll16rocsparse_order_21rocsparse_index_base_b,"axG",@progbits,_ZN9rocsparseL29bsrmmnt_small_blockdim_kernelILj64ELj8ELj2EliDF16_DF16_ffEEv20rocsparse_direction_T3_S2_llNS_24const_host_device_scalarIT7_EEPKT2_PKS2_PKT4_PKT5_llS5_PT6_ll16rocsparse_order_21rocsparse_index_base_b,comdat
	.globl	_ZN9rocsparseL29bsrmmnt_small_blockdim_kernelILj64ELj8ELj2EliDF16_DF16_ffEEv20rocsparse_direction_T3_S2_llNS_24const_host_device_scalarIT7_EEPKT2_PKS2_PKT4_PKT5_llS5_PT6_ll16rocsparse_order_21rocsparse_index_base_b ; -- Begin function _ZN9rocsparseL29bsrmmnt_small_blockdim_kernelILj64ELj8ELj2EliDF16_DF16_ffEEv20rocsparse_direction_T3_S2_llNS_24const_host_device_scalarIT7_EEPKT2_PKS2_PKT4_PKT5_llS5_PT6_ll16rocsparse_order_21rocsparse_index_base_b
	.p2align	8
	.type	_ZN9rocsparseL29bsrmmnt_small_blockdim_kernelILj64ELj8ELj2EliDF16_DF16_ffEEv20rocsparse_direction_T3_S2_llNS_24const_host_device_scalarIT7_EEPKT2_PKS2_PKT4_PKT5_llS5_PT6_ll16rocsparse_order_21rocsparse_index_base_b,@function
_ZN9rocsparseL29bsrmmnt_small_blockdim_kernelILj64ELj8ELj2EliDF16_DF16_ffEEv20rocsparse_direction_T3_S2_llNS_24const_host_device_scalarIT7_EEPKT2_PKS2_PKT4_PKT5_llS5_PT6_ll16rocsparse_order_21rocsparse_index_base_b: ; @_ZN9rocsparseL29bsrmmnt_small_blockdim_kernelILj64ELj8ELj2EliDF16_DF16_ffEEv20rocsparse_direction_T3_S2_llNS_24const_host_device_scalarIT7_EEPKT2_PKS2_PKT4_PKT5_llS5_PT6_ll16rocsparse_order_21rocsparse_index_base_b
; %bb.0:
	s_clause 0x2
	s_load_b96 s[16:18], s[0:1], 0x78
	s_load_b64 s[2:3], s[0:1], 0x20
	s_load_b64 s[24:25], s[0:1], 0x58
	s_wait_kmcnt 0x0
	s_bitcmp1_b32 s18, 0
	s_cselect_b32 s4, -1, 0
	s_delay_alu instid0(SALU_CYCLE_1)
	s_and_b32 vcc_lo, exec_lo, s4
	s_xor_b32 s4, s4, -1
	s_cbranch_vccnz .LBB73_2
; %bb.1:
	s_load_b32 s2, s[2:3], 0x0
.LBB73_2:
	s_and_not1_b32 vcc_lo, exec_lo, s4
	s_cbranch_vccnz .LBB73_4
; %bb.3:
	s_load_b32 s24, s[24:25], 0x0
.LBB73_4:
	s_wait_kmcnt 0x0
	s_cmp_eq_f32 s2, 0
	s_cselect_b32 s3, -1, 0
	s_cmp_eq_f32 s24, 1.0
	s_cselect_b32 s4, -1, 0
	s_delay_alu instid0(SALU_CYCLE_1) | instskip(NEXT) | instid1(SALU_CYCLE_1)
	s_and_b32 s3, s3, s4
	s_and_b32 vcc_lo, exec_lo, s3
	s_cbranch_vccnz .LBB73_30
; %bb.5:
	s_clause 0x1
	s_load_b32 s3, s[0:1], 0x94
	s_load_b96 s[20:22], s[0:1], 0x0
	s_bfe_u32 s4, ttmp6, 0x4000c
	s_and_b32 s5, ttmp6, 15
	s_add_co_i32 s4, s4, 1
	s_getreg_b32 s6, hwreg(HW_REG_IB_STS2, 6, 4)
	s_mul_i32 s4, ttmp9, s4
	s_delay_alu instid0(SALU_CYCLE_1) | instskip(SKIP_4) | instid1(SALU_CYCLE_1)
	s_add_co_i32 s5, s5, s4
	s_wait_kmcnt 0x0
	s_and_b32 s3, s3, 0xffff
	s_cmp_eq_u32 s6, 0
	s_cselect_b32 s4, ttmp9, s5
	v_mad_u32 v2, s4, s3, v0
	s_mov_b32 s3, exec_lo
	s_delay_alu instid0(VALU_DEP_1) | instskip(NEXT) | instid1(VALU_DEP_1)
	v_lshrrev_b32_e32 v1, 4, v2
	v_cmpx_gt_i32_e64 s21, v1
	s_cbranch_execz .LBB73_30
; %bb.6:
	s_cmp_lt_i32 s22, 1
	s_cbranch_scc1 .LBB73_30
; %bb.7:
	s_load_b256 s[4:11], s[0:1], 0x28
	v_dual_lshlrev_b32 v1, 3, v1 :: v_dual_lshrrev_b32 v4, 3, v2
	s_load_b128 s[12:15], s[0:1], 0x60
	s_cmp_neq_f32 s24, 0
	s_mov_b32 s19, 0
	s_mov_b32 s18, s17
	v_lshrrev_b32_e32 v3, 3, v0
	s_cselect_b32 s3, -1, 0
	s_cmp_lg_u32 s16, 1
	v_and_b32_e32 v0, 7, v0
	s_cselect_b32 s16, -1, 0
	s_cmp_eq_u32 s20, 0
	v_lshl_add_u32 v20, v3, 5, 0x180
	v_mul_u32_u24_e32 v21, 48, v3
	v_mul_u32_u24_e32 v16, 6, v0
	s_delay_alu instid0(VALU_DEP_3)
	v_lshl_or_b32 v22, v0, 2, v20
	s_wait_kmcnt 0x0
	global_load_b128 v[8:11], v1, s[4:5]
	s_wait_xcnt 0x0
	v_mov_b32_e32 v1, 0
	s_load_b64 s[4:5], s[0:1], 0x48
	s_wait_xcnt 0x0
	s_cselect_b32 s1, -1, 0
	v_add_nc_u32_e32 v23, v21, v16
	v_cndmask_b32_e64 v6, 0, 1, s1
	v_dual_mov_b32 v5, v1 :: v_dual_mov_b32 v3, v1
	v_mov_b32_e32 v15, v1
	s_and_b32 s1, s1, exec_lo
	s_delay_alu instid0(VALU_DEP_2) | instskip(SKIP_1) | instid1(VALU_DEP_1)
	v_mul_u64_e32 v[12:13], s[14:15], v[4:5]
	v_bfe_u32 v5, v2, 3, 1
	v_dual_lshlrev_b32 v2, 2, v4 :: v_dual_lshlrev_b32 v4, v6, v5
	s_delay_alu instid0(VALU_DEP_1) | instskip(NEXT) | instid1(VALU_DEP_2)
	v_add_nc_u64_e32 v[2:3], s[12:13], v[2:3]
	v_lshlrev_b32_e32 v14, 1, v4
	s_wait_loadcnt 0x0
	v_sub_nc_u64_e64 v[4:5], v[8:9], s[18:19]
	v_sub_nc_u64_e64 v[6:7], v[10:11], s[18:19]
	v_cmp_lt_i64_e64 s0, v[8:9], v[10:11]
	v_add_nc_u64_e32 v[8:9], s[8:9], v[14:15]
	v_lshl_add_u64 v[10:11], v[12:13], 2, s[12:13]
	s_cselect_b32 s18, 2, 4
	s_mov_b32 s8, s19
	s_branch .LBB73_9
.LBB73_8:                               ;   in Loop: Header=BB73_9 Depth=1
	s_wait_xcnt 0x0
	s_or_b32 exec_lo, exec_lo, s1
	s_add_co_i32 s8, s8, 8
	s_delay_alu instid0(SALU_CYCLE_1)
	s_cmp_lt_i32 s8, s22
	s_cbranch_scc0 .LBB73_30
.LBB73_9:                               ; =>This Loop Header: Depth=1
                                        ;     Child Loop BB73_12 Depth 2
                                        ;       Child Loop BB73_16 Depth 3
	v_dual_mov_b32 v24, 0 :: v_dual_bitop2_b32 v12, s8, v0 bitop3:0x54
	s_delay_alu instid0(VALU_DEP_1)
	v_ashrrev_i32_e32 v13, 31, v12
	s_and_saveexec_b32 s9, s0
	s_cbranch_execz .LBB73_18
; %bb.10:                               ;   in Loop: Header=BB73_9 Depth=1
	v_mov_b64_e32 v[16:17], v[4:5]
	s_delay_alu instid0(VALU_DEP_2)
	v_lshl_add_u64 v[14:15], v[12:13], 1, s[10:11]
	v_mov_b32_e32 v24, 0
	s_mov_b32 s12, 0
	v_cmp_gt_i32_e32 vcc_lo, s22, v12
	s_branch .LBB73_12
.LBB73_11:                              ;   in Loop: Header=BB73_12 Depth=2
	s_or_b32 exec_lo, exec_lo, s1
	v_add_nc_u64_e32 v[16:17], 8, v[16:17]
	s_delay_alu instid0(VALU_DEP_1) | instskip(SKIP_1) | instid1(SALU_CYCLE_1)
	v_cmp_ge_i64_e64 s1, v[16:17], v[6:7]
	s_or_b32 s12, s1, s12
	s_and_not1_b32 exec_lo, exec_lo, s12
	s_cbranch_execz .LBB73_17
.LBB73_12:                              ;   Parent Loop BB73_9 Depth=1
                                        ; =>  This Loop Header: Depth=2
                                        ;       Child Loop BB73_16 Depth 3
	s_delay_alu instid0(VALU_DEP_4) | instskip(SKIP_3) | instid1(VALU_DEP_3)
	v_add_nc_u64_e32 v[18:19], v[16:17], v[0:1]
	v_dual_mov_b32 v27, 0 :: v_dual_mov_b32 v25, 0
	v_mov_b32_e32 v26, 0
	s_mov_b32 s13, exec_lo
	v_cmpx_lt_i64_e64 v[18:19], v[6:7]
	s_cbranch_execz .LBB73_14
; %bb.13:                               ;   in Loop: Header=BB73_12 Depth=2
	v_lshl_add_u64 v[26:27], v[18:19], 2, s[6:7]
	v_lshl_add_u64 v[18:19], v[18:19], 3, v[8:9]
	global_load_b32 v27, v[26:27], off
	v_add_nc_u64_e32 v[28:29], s[18:19], v[18:19]
	s_clause 0x1
	global_load_u16 v25, v[18:19], off
	global_load_u16 v26, v[28:29], off
	s_wait_loadcnt 0x2
	s_wait_xcnt 0x1
	v_subrev_nc_u32_e32 v18, s17, v27
	s_delay_alu instid0(VALU_DEP_1)
	v_lshlrev_b32_e32 v27, 1, v18
.LBB73_14:                              ;   in Loop: Header=BB73_12 Depth=2
	s_wait_xcnt 0x0
	s_or_b32 exec_lo, exec_lo, s13
	ds_store_b32 v22, v27
	s_wait_loadcnt 0x1
	ds_store_b16 v23, v25
	s_wait_loadcnt 0x0
	ds_store_b16 v23, v26 offset:2
	s_wait_dscnt 0x0
	s_barrier_signal -1
	s_barrier_wait -1
	s_and_saveexec_b32 s1, vcc_lo
	s_cbranch_execz .LBB73_11
; %bb.15:                               ;   in Loop: Header=BB73_12 Depth=2
	v_mov_b32_e32 v18, v21
	s_mov_b32 s13, 0
.LBB73_16:                              ;   Parent Loop BB73_9 Depth=1
                                        ;     Parent Loop BB73_12 Depth=2
                                        ; =>    This Inner Loop Header: Depth=3
	s_delay_alu instid0(SALU_CYCLE_1) | instskip(SKIP_1) | instid1(SALU_CYCLE_1)
	v_add_nc_u32_e32 v19, s13, v20
	s_add_co_i32 s13, s13, 8
	s_cmp_lg_u32 s13, 32
	ds_load_b64 v[26:27], v19
	s_wait_dscnt 0x0
	v_dual_mov_b32 v28, v26 :: v_dual_ashrrev_i32 v29, 31, v26
	v_dual_add_nc_u32 v30, 1, v26 :: v_dual_mov_b32 v32, v27
	v_dual_add_nc_u32 v26, 1, v27 :: v_dual_ashrrev_i32 v33, 31, v27
	s_wait_kmcnt 0x0
	s_delay_alu instid0(VALU_DEP_3) | instskip(NEXT) | instid1(VALU_DEP_3)
	v_mul_u64_e32 v[28:29], s[4:5], v[28:29]
	v_ashrrev_i32_e32 v31, 31, v30
	s_delay_alu instid0(VALU_DEP_3) | instskip(SKIP_1) | instid1(VALU_DEP_3)
	v_ashrrev_i32_e32 v27, 31, v26
	v_mul_u64_e32 v[32:33], s[4:5], v[32:33]
	v_mul_u64_e32 v[30:31], s[4:5], v[30:31]
	s_delay_alu instid0(VALU_DEP_3)
	v_mul_u64_e32 v[26:27], s[4:5], v[26:27]
	v_lshl_add_u64 v[28:29], v[28:29], 1, v[14:15]
	global_load_u16 v19, v[28:29], off
	s_wait_xcnt 0x0
	v_lshl_add_u64 v[28:29], v[30:31], 1, v[14:15]
	v_lshl_add_u64 v[30:31], v[32:33], 1, v[14:15]
	;; [unrolled: 1-line block ×3, first 2 shown]
	s_clause 0x2
	global_load_u16 v25, v[28:29], off
	global_load_u16 v28, v[30:31], off
	;; [unrolled: 1-line block ×3, first 2 shown]
	s_wait_xcnt 0x0
	ds_load_b32 v26, v18
	ds_load_u16 v27, v18 offset:6
	ds_load_u16 v30, v18 offset:8
	v_add_nc_u32_e32 v18, 12, v18
	s_wait_loadcnt_dscnt 0x302
	v_fma_mix_f32 v19, v26, v19, v24 op_sel_hi:[1,1,0]
	s_wait_loadcnt 0x2
	s_delay_alu instid0(VALU_DEP_1) | instskip(SKIP_1) | instid1(VALU_DEP_1)
	v_fma_mix_f32 v19, v26, v25, v19 op_sel:[1,0,0] op_sel_hi:[1,1,0]
	s_wait_loadcnt_dscnt 0x101
	v_fma_mix_f32 v19, v27, v28, v19 op_sel_hi:[1,1,0]
	s_wait_loadcnt_dscnt 0x0
	s_delay_alu instid0(VALU_DEP_1)
	v_fma_mix_f32 v24, v30, v29, v19 op_sel_hi:[1,1,0]
	s_cbranch_scc1 .LBB73_16
	s_branch .LBB73_11
.LBB73_17:                              ;   in Loop: Header=BB73_9 Depth=1
	s_or_b32 exec_lo, exec_lo, s12
.LBB73_18:                              ;   in Loop: Header=BB73_9 Depth=1
	s_delay_alu instid0(SALU_CYCLE_1) | instskip(NEXT) | instid1(SALU_CYCLE_1)
	s_or_b32 exec_lo, exec_lo, s9
	s_mov_b32 s1, exec_lo
	v_cmpx_gt_i32_e64 s22, v12
	s_cbranch_execz .LBB73_8
; %bb.19:                               ;   in Loop: Header=BB73_9 Depth=1
	s_and_b32 vcc_lo, exec_lo, s3
	s_cbranch_vccz .LBB73_25
; %bb.20:                               ;   in Loop: Header=BB73_9 Depth=1
	s_and_b32 vcc_lo, exec_lo, s16
	s_mov_b32 s9, -1
	s_cbranch_vccz .LBB73_22
; %bb.21:                               ;   in Loop: Header=BB73_9 Depth=1
	v_lshl_add_u64 v[14:15], v[12:13], 2, v[10:11]
	v_mul_f32_e32 v17, s2, v24
	s_mov_b32 s9, 0
	global_load_b32 v16, v[14:15], off
	s_wait_loadcnt 0x0
	v_fmac_f32_e32 v17, s24, v16
	global_store_b32 v[14:15], v17, off
.LBB73_22:                              ;   in Loop: Header=BB73_9 Depth=1
	s_and_not1_b32 vcc_lo, exec_lo, s9
	s_cbranch_vccnz .LBB73_24
; %bb.23:                               ;   in Loop: Header=BB73_9 Depth=1
	s_wait_xcnt 0x0
	v_mul_u64_e32 v[14:15], s[14:15], v[12:13]
	v_mul_f32_e32 v17, s2, v24
	s_delay_alu instid0(VALU_DEP_2)
	v_lshl_add_u64 v[14:15], v[14:15], 2, v[2:3]
	global_load_b32 v16, v[14:15], off
	s_wait_loadcnt 0x0
	v_fmac_f32_e32 v17, s24, v16
	global_store_b32 v[14:15], v17, off
.LBB73_24:                              ;   in Loop: Header=BB73_9 Depth=1
	s_cbranch_execnz .LBB73_8
	s_branch .LBB73_26
.LBB73_25:                              ;   in Loop: Header=BB73_9 Depth=1
.LBB73_26:                              ;   in Loop: Header=BB73_9 Depth=1
	s_wait_xcnt 0x0
	v_mul_f32_e32 v14, s2, v24
	s_and_b32 vcc_lo, exec_lo, s16
	s_mov_b32 s9, -1
	s_cbranch_vccz .LBB73_28
; %bb.27:                               ;   in Loop: Header=BB73_9 Depth=1
	v_lshl_add_u64 v[16:17], v[12:13], 2, v[10:11]
	s_mov_b32 s9, 0
	global_store_b32 v[16:17], v14, off
.LBB73_28:                              ;   in Loop: Header=BB73_9 Depth=1
	s_and_not1_b32 vcc_lo, exec_lo, s9
	s_cbranch_vccnz .LBB73_8
; %bb.29:                               ;   in Loop: Header=BB73_9 Depth=1
	v_mul_u64_e32 v[12:13], s[14:15], v[12:13]
	s_delay_alu instid0(VALU_DEP_1)
	v_lshl_add_u64 v[12:13], v[12:13], 2, v[2:3]
	global_store_b32 v[12:13], v14, off
	s_branch .LBB73_8
.LBB73_30:
	s_endpgm
	.section	.rodata,"a",@progbits
	.p2align	6, 0x0
	.amdhsa_kernel _ZN9rocsparseL29bsrmmnt_small_blockdim_kernelILj64ELj8ELj2EliDF16_DF16_ffEEv20rocsparse_direction_T3_S2_llNS_24const_host_device_scalarIT7_EEPKT2_PKS2_PKT4_PKT5_llS5_PT6_ll16rocsparse_order_21rocsparse_index_base_b
		.amdhsa_group_segment_fixed_size 640
		.amdhsa_private_segment_fixed_size 0
		.amdhsa_kernarg_size 392
		.amdhsa_user_sgpr_count 2
		.amdhsa_user_sgpr_dispatch_ptr 0
		.amdhsa_user_sgpr_queue_ptr 0
		.amdhsa_user_sgpr_kernarg_segment_ptr 1
		.amdhsa_user_sgpr_dispatch_id 0
		.amdhsa_user_sgpr_kernarg_preload_length 0
		.amdhsa_user_sgpr_kernarg_preload_offset 0
		.amdhsa_user_sgpr_private_segment_size 0
		.amdhsa_wavefront_size32 1
		.amdhsa_uses_dynamic_stack 0
		.amdhsa_enable_private_segment 0
		.amdhsa_system_sgpr_workgroup_id_x 1
		.amdhsa_system_sgpr_workgroup_id_y 0
		.amdhsa_system_sgpr_workgroup_id_z 0
		.amdhsa_system_sgpr_workgroup_info 0
		.amdhsa_system_vgpr_workitem_id 0
		.amdhsa_next_free_vgpr 34
		.amdhsa_next_free_sgpr 26
		.amdhsa_named_barrier_count 0
		.amdhsa_reserve_vcc 1
		.amdhsa_float_round_mode_32 0
		.amdhsa_float_round_mode_16_64 0
		.amdhsa_float_denorm_mode_32 3
		.amdhsa_float_denorm_mode_16_64 3
		.amdhsa_fp16_overflow 0
		.amdhsa_memory_ordered 1
		.amdhsa_forward_progress 1
		.amdhsa_inst_pref_size 11
		.amdhsa_round_robin_scheduling 0
		.amdhsa_exception_fp_ieee_invalid_op 0
		.amdhsa_exception_fp_denorm_src 0
		.amdhsa_exception_fp_ieee_div_zero 0
		.amdhsa_exception_fp_ieee_overflow 0
		.amdhsa_exception_fp_ieee_underflow 0
		.amdhsa_exception_fp_ieee_inexact 0
		.amdhsa_exception_int_div_zero 0
	.end_amdhsa_kernel
	.section	.text._ZN9rocsparseL29bsrmmnt_small_blockdim_kernelILj64ELj8ELj2EliDF16_DF16_ffEEv20rocsparse_direction_T3_S2_llNS_24const_host_device_scalarIT7_EEPKT2_PKS2_PKT4_PKT5_llS5_PT6_ll16rocsparse_order_21rocsparse_index_base_b,"axG",@progbits,_ZN9rocsparseL29bsrmmnt_small_blockdim_kernelILj64ELj8ELj2EliDF16_DF16_ffEEv20rocsparse_direction_T3_S2_llNS_24const_host_device_scalarIT7_EEPKT2_PKS2_PKT4_PKT5_llS5_PT6_ll16rocsparse_order_21rocsparse_index_base_b,comdat
.Lfunc_end73:
	.size	_ZN9rocsparseL29bsrmmnt_small_blockdim_kernelILj64ELj8ELj2EliDF16_DF16_ffEEv20rocsparse_direction_T3_S2_llNS_24const_host_device_scalarIT7_EEPKT2_PKS2_PKT4_PKT5_llS5_PT6_ll16rocsparse_order_21rocsparse_index_base_b, .Lfunc_end73-_ZN9rocsparseL29bsrmmnt_small_blockdim_kernelILj64ELj8ELj2EliDF16_DF16_ffEEv20rocsparse_direction_T3_S2_llNS_24const_host_device_scalarIT7_EEPKT2_PKS2_PKT4_PKT5_llS5_PT6_ll16rocsparse_order_21rocsparse_index_base_b
                                        ; -- End function
	.set _ZN9rocsparseL29bsrmmnt_small_blockdim_kernelILj64ELj8ELj2EliDF16_DF16_ffEEv20rocsparse_direction_T3_S2_llNS_24const_host_device_scalarIT7_EEPKT2_PKS2_PKT4_PKT5_llS5_PT6_ll16rocsparse_order_21rocsparse_index_base_b.num_vgpr, 34
	.set _ZN9rocsparseL29bsrmmnt_small_blockdim_kernelILj64ELj8ELj2EliDF16_DF16_ffEEv20rocsparse_direction_T3_S2_llNS_24const_host_device_scalarIT7_EEPKT2_PKS2_PKT4_PKT5_llS5_PT6_ll16rocsparse_order_21rocsparse_index_base_b.num_agpr, 0
	.set _ZN9rocsparseL29bsrmmnt_small_blockdim_kernelILj64ELj8ELj2EliDF16_DF16_ffEEv20rocsparse_direction_T3_S2_llNS_24const_host_device_scalarIT7_EEPKT2_PKS2_PKT4_PKT5_llS5_PT6_ll16rocsparse_order_21rocsparse_index_base_b.numbered_sgpr, 26
	.set _ZN9rocsparseL29bsrmmnt_small_blockdim_kernelILj64ELj8ELj2EliDF16_DF16_ffEEv20rocsparse_direction_T3_S2_llNS_24const_host_device_scalarIT7_EEPKT2_PKS2_PKT4_PKT5_llS5_PT6_ll16rocsparse_order_21rocsparse_index_base_b.num_named_barrier, 0
	.set _ZN9rocsparseL29bsrmmnt_small_blockdim_kernelILj64ELj8ELj2EliDF16_DF16_ffEEv20rocsparse_direction_T3_S2_llNS_24const_host_device_scalarIT7_EEPKT2_PKS2_PKT4_PKT5_llS5_PT6_ll16rocsparse_order_21rocsparse_index_base_b.private_seg_size, 0
	.set _ZN9rocsparseL29bsrmmnt_small_blockdim_kernelILj64ELj8ELj2EliDF16_DF16_ffEEv20rocsparse_direction_T3_S2_llNS_24const_host_device_scalarIT7_EEPKT2_PKS2_PKT4_PKT5_llS5_PT6_ll16rocsparse_order_21rocsparse_index_base_b.uses_vcc, 1
	.set _ZN9rocsparseL29bsrmmnt_small_blockdim_kernelILj64ELj8ELj2EliDF16_DF16_ffEEv20rocsparse_direction_T3_S2_llNS_24const_host_device_scalarIT7_EEPKT2_PKS2_PKT4_PKT5_llS5_PT6_ll16rocsparse_order_21rocsparse_index_base_b.uses_flat_scratch, 0
	.set _ZN9rocsparseL29bsrmmnt_small_blockdim_kernelILj64ELj8ELj2EliDF16_DF16_ffEEv20rocsparse_direction_T3_S2_llNS_24const_host_device_scalarIT7_EEPKT2_PKS2_PKT4_PKT5_llS5_PT6_ll16rocsparse_order_21rocsparse_index_base_b.has_dyn_sized_stack, 0
	.set _ZN9rocsparseL29bsrmmnt_small_blockdim_kernelILj64ELj8ELj2EliDF16_DF16_ffEEv20rocsparse_direction_T3_S2_llNS_24const_host_device_scalarIT7_EEPKT2_PKS2_PKT4_PKT5_llS5_PT6_ll16rocsparse_order_21rocsparse_index_base_b.has_recursion, 0
	.set _ZN9rocsparseL29bsrmmnt_small_blockdim_kernelILj64ELj8ELj2EliDF16_DF16_ffEEv20rocsparse_direction_T3_S2_llNS_24const_host_device_scalarIT7_EEPKT2_PKS2_PKT4_PKT5_llS5_PT6_ll16rocsparse_order_21rocsparse_index_base_b.has_indirect_call, 0
	.section	.AMDGPU.csdata,"",@progbits
; Kernel info:
; codeLenInByte = 1332
; TotalNumSgprs: 28
; NumVgprs: 34
; ScratchSize: 0
; MemoryBound: 0
; FloatMode: 240
; IeeeMode: 1
; LDSByteSize: 640 bytes/workgroup (compile time only)
; SGPRBlocks: 0
; VGPRBlocks: 2
; NumSGPRsForWavesPerEU: 28
; NumVGPRsForWavesPerEU: 34
; NamedBarCnt: 0
; Occupancy: 16
; WaveLimiterHint : 0
; COMPUTE_PGM_RSRC2:SCRATCH_EN: 0
; COMPUTE_PGM_RSRC2:USER_SGPR: 2
; COMPUTE_PGM_RSRC2:TRAP_HANDLER: 0
; COMPUTE_PGM_RSRC2:TGID_X_EN: 1
; COMPUTE_PGM_RSRC2:TGID_Y_EN: 0
; COMPUTE_PGM_RSRC2:TGID_Z_EN: 0
; COMPUTE_PGM_RSRC2:TIDIG_COMP_CNT: 0
	.section	.text._ZN9rocsparseL29bsrmmnt_small_blockdim_kernelILj64ELj16ELj2EliDF16_DF16_ffEEv20rocsparse_direction_T3_S2_llNS_24const_host_device_scalarIT7_EEPKT2_PKS2_PKT4_PKT5_llS5_PT6_ll16rocsparse_order_21rocsparse_index_base_b,"axG",@progbits,_ZN9rocsparseL29bsrmmnt_small_blockdim_kernelILj64ELj16ELj2EliDF16_DF16_ffEEv20rocsparse_direction_T3_S2_llNS_24const_host_device_scalarIT7_EEPKT2_PKS2_PKT4_PKT5_llS5_PT6_ll16rocsparse_order_21rocsparse_index_base_b,comdat
	.globl	_ZN9rocsparseL29bsrmmnt_small_blockdim_kernelILj64ELj16ELj2EliDF16_DF16_ffEEv20rocsparse_direction_T3_S2_llNS_24const_host_device_scalarIT7_EEPKT2_PKS2_PKT4_PKT5_llS5_PT6_ll16rocsparse_order_21rocsparse_index_base_b ; -- Begin function _ZN9rocsparseL29bsrmmnt_small_blockdim_kernelILj64ELj16ELj2EliDF16_DF16_ffEEv20rocsparse_direction_T3_S2_llNS_24const_host_device_scalarIT7_EEPKT2_PKS2_PKT4_PKT5_llS5_PT6_ll16rocsparse_order_21rocsparse_index_base_b
	.p2align	8
	.type	_ZN9rocsparseL29bsrmmnt_small_blockdim_kernelILj64ELj16ELj2EliDF16_DF16_ffEEv20rocsparse_direction_T3_S2_llNS_24const_host_device_scalarIT7_EEPKT2_PKS2_PKT4_PKT5_llS5_PT6_ll16rocsparse_order_21rocsparse_index_base_b,@function
_ZN9rocsparseL29bsrmmnt_small_blockdim_kernelILj64ELj16ELj2EliDF16_DF16_ffEEv20rocsparse_direction_T3_S2_llNS_24const_host_device_scalarIT7_EEPKT2_PKS2_PKT4_PKT5_llS5_PT6_ll16rocsparse_order_21rocsparse_index_base_b: ; @_ZN9rocsparseL29bsrmmnt_small_blockdim_kernelILj64ELj16ELj2EliDF16_DF16_ffEEv20rocsparse_direction_T3_S2_llNS_24const_host_device_scalarIT7_EEPKT2_PKS2_PKT4_PKT5_llS5_PT6_ll16rocsparse_order_21rocsparse_index_base_b
; %bb.0:
	s_clause 0x2
	s_load_b96 s[16:18], s[0:1], 0x78
	s_load_b64 s[2:3], s[0:1], 0x20
	s_load_b64 s[24:25], s[0:1], 0x58
	s_wait_kmcnt 0x0
	s_bitcmp1_b32 s18, 0
	s_cselect_b32 s4, -1, 0
	s_delay_alu instid0(SALU_CYCLE_1)
	s_and_b32 vcc_lo, exec_lo, s4
	s_xor_b32 s4, s4, -1
	s_cbranch_vccnz .LBB74_2
; %bb.1:
	s_load_b32 s2, s[2:3], 0x0
.LBB74_2:
	s_and_not1_b32 vcc_lo, exec_lo, s4
	s_cbranch_vccnz .LBB74_4
; %bb.3:
	s_load_b32 s24, s[24:25], 0x0
.LBB74_4:
	s_wait_kmcnt 0x0
	s_cmp_eq_f32 s2, 0
	s_cselect_b32 s3, -1, 0
	s_cmp_eq_f32 s24, 1.0
	s_cselect_b32 s4, -1, 0
	s_delay_alu instid0(SALU_CYCLE_1) | instskip(NEXT) | instid1(SALU_CYCLE_1)
	s_and_b32 s3, s3, s4
	s_and_b32 vcc_lo, exec_lo, s3
	s_cbranch_vccnz .LBB74_30
; %bb.5:
	s_clause 0x1
	s_load_b32 s3, s[0:1], 0x94
	s_load_b96 s[20:22], s[0:1], 0x0
	s_bfe_u32 s4, ttmp6, 0x4000c
	s_and_b32 s5, ttmp6, 15
	s_add_co_i32 s4, s4, 1
	s_getreg_b32 s6, hwreg(HW_REG_IB_STS2, 6, 4)
	s_mul_i32 s4, ttmp9, s4
	s_delay_alu instid0(SALU_CYCLE_1) | instskip(SKIP_4) | instid1(SALU_CYCLE_1)
	s_add_co_i32 s5, s5, s4
	s_wait_kmcnt 0x0
	s_and_b32 s3, s3, 0xffff
	s_cmp_eq_u32 s6, 0
	s_cselect_b32 s4, ttmp9, s5
	v_mad_u32 v2, s4, s3, v0
	s_mov_b32 s3, exec_lo
	s_delay_alu instid0(VALU_DEP_1) | instskip(NEXT) | instid1(VALU_DEP_1)
	v_lshrrev_b32_e32 v1, 5, v2
	v_cmpx_gt_i32_e64 s21, v1
	s_cbranch_execz .LBB74_30
; %bb.6:
	s_cmp_lt_i32 s22, 1
	s_cbranch_scc1 .LBB74_30
; %bb.7:
	s_load_b256 s[4:11], s[0:1], 0x28
	v_dual_lshlrev_b32 v1, 3, v1 :: v_dual_lshrrev_b32 v4, 4, v2
	s_load_b128 s[12:15], s[0:1], 0x60
	s_cmp_neq_f32 s24, 0
	s_mov_b32 s19, 0
	s_mov_b32 s18, s17
	v_lshrrev_b32_e32 v3, 4, v0
	s_cselect_b32 s3, -1, 0
	s_cmp_lg_u32 s16, 1
	v_and_b32_e32 v0, 15, v0
	s_cselect_b32 s16, -1, 0
	s_cmp_eq_u32 s20, 0
	v_lshl_add_u32 v20, v3, 6, 0x180
	v_mul_u32_u24_e32 v21, 0x60, v3
	v_mul_u32_u24_e32 v16, 6, v0
	s_delay_alu instid0(VALU_DEP_3)
	v_lshl_or_b32 v22, v0, 2, v20
	s_wait_kmcnt 0x0
	global_load_b128 v[8:11], v1, s[4:5]
	s_wait_xcnt 0x0
	v_mov_b32_e32 v1, 0
	s_load_b64 s[4:5], s[0:1], 0x48
	s_wait_xcnt 0x0
	s_cselect_b32 s1, -1, 0
	v_add_nc_u32_e32 v23, v21, v16
	v_cndmask_b32_e64 v6, 0, 1, s1
	v_dual_mov_b32 v5, v1 :: v_dual_mov_b32 v3, v1
	v_mov_b32_e32 v15, v1
	s_and_b32 s1, s1, exec_lo
	s_delay_alu instid0(VALU_DEP_2) | instskip(SKIP_1) | instid1(VALU_DEP_1)
	v_mul_u64_e32 v[12:13], s[14:15], v[4:5]
	v_bfe_u32 v5, v2, 4, 1
	v_dual_lshlrev_b32 v2, 2, v4 :: v_dual_lshlrev_b32 v4, v6, v5
	s_delay_alu instid0(VALU_DEP_1) | instskip(NEXT) | instid1(VALU_DEP_2)
	v_add_nc_u64_e32 v[2:3], s[12:13], v[2:3]
	v_lshlrev_b32_e32 v14, 1, v4
	s_wait_loadcnt 0x0
	v_sub_nc_u64_e64 v[4:5], v[8:9], s[18:19]
	v_sub_nc_u64_e64 v[6:7], v[10:11], s[18:19]
	v_cmp_lt_i64_e64 s0, v[8:9], v[10:11]
	v_add_nc_u64_e32 v[8:9], s[8:9], v[14:15]
	v_lshl_add_u64 v[10:11], v[12:13], 2, s[12:13]
	s_cselect_b32 s18, 2, 4
	s_mov_b32 s8, s19
	s_branch .LBB74_9
.LBB74_8:                               ;   in Loop: Header=BB74_9 Depth=1
	s_wait_xcnt 0x0
	s_or_b32 exec_lo, exec_lo, s1
	s_add_co_i32 s8, s8, 16
	s_delay_alu instid0(SALU_CYCLE_1)
	s_cmp_lt_i32 s8, s22
	s_cbranch_scc0 .LBB74_30
.LBB74_9:                               ; =>This Loop Header: Depth=1
                                        ;     Child Loop BB74_12 Depth 2
                                        ;       Child Loop BB74_16 Depth 3
	v_dual_mov_b32 v24, 0 :: v_dual_bitop2_b32 v12, s8, v0 bitop3:0x54
	s_delay_alu instid0(VALU_DEP_1)
	v_ashrrev_i32_e32 v13, 31, v12
	s_and_saveexec_b32 s9, s0
	s_cbranch_execz .LBB74_18
; %bb.10:                               ;   in Loop: Header=BB74_9 Depth=1
	v_mov_b64_e32 v[16:17], v[4:5]
	s_delay_alu instid0(VALU_DEP_2)
	v_lshl_add_u64 v[14:15], v[12:13], 1, s[10:11]
	v_mov_b32_e32 v24, 0
	s_mov_b32 s12, 0
	v_cmp_gt_i32_e32 vcc_lo, s22, v12
	s_branch .LBB74_12
.LBB74_11:                              ;   in Loop: Header=BB74_12 Depth=2
	s_or_b32 exec_lo, exec_lo, s1
	v_add_nc_u64_e32 v[16:17], 16, v[16:17]
	s_delay_alu instid0(VALU_DEP_1) | instskip(SKIP_1) | instid1(SALU_CYCLE_1)
	v_cmp_ge_i64_e64 s1, v[16:17], v[6:7]
	s_or_b32 s12, s1, s12
	s_and_not1_b32 exec_lo, exec_lo, s12
	s_cbranch_execz .LBB74_17
.LBB74_12:                              ;   Parent Loop BB74_9 Depth=1
                                        ; =>  This Loop Header: Depth=2
                                        ;       Child Loop BB74_16 Depth 3
	s_delay_alu instid0(VALU_DEP_4) | instskip(SKIP_3) | instid1(VALU_DEP_3)
	v_add_nc_u64_e32 v[18:19], v[16:17], v[0:1]
	v_dual_mov_b32 v27, 0 :: v_dual_mov_b32 v25, 0
	v_mov_b32_e32 v26, 0
	s_mov_b32 s13, exec_lo
	v_cmpx_lt_i64_e64 v[18:19], v[6:7]
	s_cbranch_execz .LBB74_14
; %bb.13:                               ;   in Loop: Header=BB74_12 Depth=2
	v_lshl_add_u64 v[26:27], v[18:19], 2, s[6:7]
	v_lshl_add_u64 v[18:19], v[18:19], 3, v[8:9]
	global_load_b32 v27, v[26:27], off
	v_add_nc_u64_e32 v[28:29], s[18:19], v[18:19]
	s_clause 0x1
	global_load_u16 v25, v[18:19], off
	global_load_u16 v26, v[28:29], off
	s_wait_loadcnt 0x2
	s_wait_xcnt 0x1
	v_subrev_nc_u32_e32 v18, s17, v27
	s_delay_alu instid0(VALU_DEP_1)
	v_lshlrev_b32_e32 v27, 1, v18
.LBB74_14:                              ;   in Loop: Header=BB74_12 Depth=2
	s_wait_xcnt 0x0
	s_or_b32 exec_lo, exec_lo, s13
	ds_store_b32 v22, v27
	s_wait_loadcnt 0x1
	ds_store_b16 v23, v25
	s_wait_loadcnt 0x0
	ds_store_b16 v23, v26 offset:2
	s_wait_dscnt 0x0
	s_barrier_signal -1
	s_barrier_wait -1
	s_and_saveexec_b32 s1, vcc_lo
	s_cbranch_execz .LBB74_11
; %bb.15:                               ;   in Loop: Header=BB74_12 Depth=2
	v_mov_b32_e32 v18, v21
	s_mov_b32 s13, 0
.LBB74_16:                              ;   Parent Loop BB74_9 Depth=1
                                        ;     Parent Loop BB74_12 Depth=2
                                        ; =>    This Inner Loop Header: Depth=3
	s_delay_alu instid0(SALU_CYCLE_1) | instskip(SKIP_1) | instid1(SALU_CYCLE_1)
	v_add_nc_u32_e32 v19, s13, v20
	s_add_co_i32 s13, s13, 8
	s_cmp_lg_u32 s13, 64
	ds_load_b64 v[26:27], v19
	s_wait_dscnt 0x0
	v_dual_mov_b32 v28, v26 :: v_dual_ashrrev_i32 v29, 31, v26
	v_dual_add_nc_u32 v30, 1, v26 :: v_dual_mov_b32 v32, v27
	v_dual_add_nc_u32 v26, 1, v27 :: v_dual_ashrrev_i32 v33, 31, v27
	s_wait_kmcnt 0x0
	s_delay_alu instid0(VALU_DEP_3) | instskip(NEXT) | instid1(VALU_DEP_3)
	v_mul_u64_e32 v[28:29], s[4:5], v[28:29]
	v_ashrrev_i32_e32 v31, 31, v30
	s_delay_alu instid0(VALU_DEP_3) | instskip(SKIP_1) | instid1(VALU_DEP_3)
	v_ashrrev_i32_e32 v27, 31, v26
	v_mul_u64_e32 v[32:33], s[4:5], v[32:33]
	v_mul_u64_e32 v[30:31], s[4:5], v[30:31]
	s_delay_alu instid0(VALU_DEP_3)
	v_mul_u64_e32 v[26:27], s[4:5], v[26:27]
	v_lshl_add_u64 v[28:29], v[28:29], 1, v[14:15]
	global_load_u16 v19, v[28:29], off
	s_wait_xcnt 0x0
	v_lshl_add_u64 v[28:29], v[30:31], 1, v[14:15]
	v_lshl_add_u64 v[30:31], v[32:33], 1, v[14:15]
	;; [unrolled: 1-line block ×3, first 2 shown]
	s_clause 0x2
	global_load_u16 v25, v[28:29], off
	global_load_u16 v28, v[30:31], off
	global_load_u16 v29, v[26:27], off
	s_wait_xcnt 0x0
	ds_load_b32 v26, v18
	ds_load_u16 v27, v18 offset:6
	ds_load_u16 v30, v18 offset:8
	v_add_nc_u32_e32 v18, 12, v18
	s_wait_loadcnt_dscnt 0x302
	v_fma_mix_f32 v19, v26, v19, v24 op_sel_hi:[1,1,0]
	s_wait_loadcnt 0x2
	s_delay_alu instid0(VALU_DEP_1) | instskip(SKIP_1) | instid1(VALU_DEP_1)
	v_fma_mix_f32 v19, v26, v25, v19 op_sel:[1,0,0] op_sel_hi:[1,1,0]
	s_wait_loadcnt_dscnt 0x101
	v_fma_mix_f32 v19, v27, v28, v19 op_sel_hi:[1,1,0]
	s_wait_loadcnt_dscnt 0x0
	s_delay_alu instid0(VALU_DEP_1)
	v_fma_mix_f32 v24, v30, v29, v19 op_sel_hi:[1,1,0]
	s_cbranch_scc1 .LBB74_16
	s_branch .LBB74_11
.LBB74_17:                              ;   in Loop: Header=BB74_9 Depth=1
	s_or_b32 exec_lo, exec_lo, s12
.LBB74_18:                              ;   in Loop: Header=BB74_9 Depth=1
	s_delay_alu instid0(SALU_CYCLE_1) | instskip(NEXT) | instid1(SALU_CYCLE_1)
	s_or_b32 exec_lo, exec_lo, s9
	s_mov_b32 s1, exec_lo
	v_cmpx_gt_i32_e64 s22, v12
	s_cbranch_execz .LBB74_8
; %bb.19:                               ;   in Loop: Header=BB74_9 Depth=1
	s_and_b32 vcc_lo, exec_lo, s3
	s_cbranch_vccz .LBB74_25
; %bb.20:                               ;   in Loop: Header=BB74_9 Depth=1
	s_and_b32 vcc_lo, exec_lo, s16
	s_mov_b32 s9, -1
	s_cbranch_vccz .LBB74_22
; %bb.21:                               ;   in Loop: Header=BB74_9 Depth=1
	v_lshl_add_u64 v[14:15], v[12:13], 2, v[10:11]
	v_mul_f32_e32 v17, s2, v24
	s_mov_b32 s9, 0
	global_load_b32 v16, v[14:15], off
	s_wait_loadcnt 0x0
	v_fmac_f32_e32 v17, s24, v16
	global_store_b32 v[14:15], v17, off
.LBB74_22:                              ;   in Loop: Header=BB74_9 Depth=1
	s_and_not1_b32 vcc_lo, exec_lo, s9
	s_cbranch_vccnz .LBB74_24
; %bb.23:                               ;   in Loop: Header=BB74_9 Depth=1
	s_wait_xcnt 0x0
	v_mul_u64_e32 v[14:15], s[14:15], v[12:13]
	v_mul_f32_e32 v17, s2, v24
	s_delay_alu instid0(VALU_DEP_2)
	v_lshl_add_u64 v[14:15], v[14:15], 2, v[2:3]
	global_load_b32 v16, v[14:15], off
	s_wait_loadcnt 0x0
	v_fmac_f32_e32 v17, s24, v16
	global_store_b32 v[14:15], v17, off
.LBB74_24:                              ;   in Loop: Header=BB74_9 Depth=1
	s_cbranch_execnz .LBB74_8
	s_branch .LBB74_26
.LBB74_25:                              ;   in Loop: Header=BB74_9 Depth=1
.LBB74_26:                              ;   in Loop: Header=BB74_9 Depth=1
	s_wait_xcnt 0x0
	v_mul_f32_e32 v14, s2, v24
	s_and_b32 vcc_lo, exec_lo, s16
	s_mov_b32 s9, -1
	s_cbranch_vccz .LBB74_28
; %bb.27:                               ;   in Loop: Header=BB74_9 Depth=1
	v_lshl_add_u64 v[16:17], v[12:13], 2, v[10:11]
	s_mov_b32 s9, 0
	global_store_b32 v[16:17], v14, off
.LBB74_28:                              ;   in Loop: Header=BB74_9 Depth=1
	s_and_not1_b32 vcc_lo, exec_lo, s9
	s_cbranch_vccnz .LBB74_8
; %bb.29:                               ;   in Loop: Header=BB74_9 Depth=1
	v_mul_u64_e32 v[12:13], s[14:15], v[12:13]
	s_delay_alu instid0(VALU_DEP_1)
	v_lshl_add_u64 v[12:13], v[12:13], 2, v[2:3]
	global_store_b32 v[12:13], v14, off
	s_branch .LBB74_8
.LBB74_30:
	s_endpgm
	.section	.rodata,"a",@progbits
	.p2align	6, 0x0
	.amdhsa_kernel _ZN9rocsparseL29bsrmmnt_small_blockdim_kernelILj64ELj16ELj2EliDF16_DF16_ffEEv20rocsparse_direction_T3_S2_llNS_24const_host_device_scalarIT7_EEPKT2_PKS2_PKT4_PKT5_llS5_PT6_ll16rocsparse_order_21rocsparse_index_base_b
		.amdhsa_group_segment_fixed_size 640
		.amdhsa_private_segment_fixed_size 0
		.amdhsa_kernarg_size 392
		.amdhsa_user_sgpr_count 2
		.amdhsa_user_sgpr_dispatch_ptr 0
		.amdhsa_user_sgpr_queue_ptr 0
		.amdhsa_user_sgpr_kernarg_segment_ptr 1
		.amdhsa_user_sgpr_dispatch_id 0
		.amdhsa_user_sgpr_kernarg_preload_length 0
		.amdhsa_user_sgpr_kernarg_preload_offset 0
		.amdhsa_user_sgpr_private_segment_size 0
		.amdhsa_wavefront_size32 1
		.amdhsa_uses_dynamic_stack 0
		.amdhsa_enable_private_segment 0
		.amdhsa_system_sgpr_workgroup_id_x 1
		.amdhsa_system_sgpr_workgroup_id_y 0
		.amdhsa_system_sgpr_workgroup_id_z 0
		.amdhsa_system_sgpr_workgroup_info 0
		.amdhsa_system_vgpr_workitem_id 0
		.amdhsa_next_free_vgpr 34
		.amdhsa_next_free_sgpr 26
		.amdhsa_named_barrier_count 0
		.amdhsa_reserve_vcc 1
		.amdhsa_float_round_mode_32 0
		.amdhsa_float_round_mode_16_64 0
		.amdhsa_float_denorm_mode_32 3
		.amdhsa_float_denorm_mode_16_64 3
		.amdhsa_fp16_overflow 0
		.amdhsa_memory_ordered 1
		.amdhsa_forward_progress 1
		.amdhsa_inst_pref_size 11
		.amdhsa_round_robin_scheduling 0
		.amdhsa_exception_fp_ieee_invalid_op 0
		.amdhsa_exception_fp_denorm_src 0
		.amdhsa_exception_fp_ieee_div_zero 0
		.amdhsa_exception_fp_ieee_overflow 0
		.amdhsa_exception_fp_ieee_underflow 0
		.amdhsa_exception_fp_ieee_inexact 0
		.amdhsa_exception_int_div_zero 0
	.end_amdhsa_kernel
	.section	.text._ZN9rocsparseL29bsrmmnt_small_blockdim_kernelILj64ELj16ELj2EliDF16_DF16_ffEEv20rocsparse_direction_T3_S2_llNS_24const_host_device_scalarIT7_EEPKT2_PKS2_PKT4_PKT5_llS5_PT6_ll16rocsparse_order_21rocsparse_index_base_b,"axG",@progbits,_ZN9rocsparseL29bsrmmnt_small_blockdim_kernelILj64ELj16ELj2EliDF16_DF16_ffEEv20rocsparse_direction_T3_S2_llNS_24const_host_device_scalarIT7_EEPKT2_PKS2_PKT4_PKT5_llS5_PT6_ll16rocsparse_order_21rocsparse_index_base_b,comdat
.Lfunc_end74:
	.size	_ZN9rocsparseL29bsrmmnt_small_blockdim_kernelILj64ELj16ELj2EliDF16_DF16_ffEEv20rocsparse_direction_T3_S2_llNS_24const_host_device_scalarIT7_EEPKT2_PKS2_PKT4_PKT5_llS5_PT6_ll16rocsparse_order_21rocsparse_index_base_b, .Lfunc_end74-_ZN9rocsparseL29bsrmmnt_small_blockdim_kernelILj64ELj16ELj2EliDF16_DF16_ffEEv20rocsparse_direction_T3_S2_llNS_24const_host_device_scalarIT7_EEPKT2_PKS2_PKT4_PKT5_llS5_PT6_ll16rocsparse_order_21rocsparse_index_base_b
                                        ; -- End function
	.set _ZN9rocsparseL29bsrmmnt_small_blockdim_kernelILj64ELj16ELj2EliDF16_DF16_ffEEv20rocsparse_direction_T3_S2_llNS_24const_host_device_scalarIT7_EEPKT2_PKS2_PKT4_PKT5_llS5_PT6_ll16rocsparse_order_21rocsparse_index_base_b.num_vgpr, 34
	.set _ZN9rocsparseL29bsrmmnt_small_blockdim_kernelILj64ELj16ELj2EliDF16_DF16_ffEEv20rocsparse_direction_T3_S2_llNS_24const_host_device_scalarIT7_EEPKT2_PKS2_PKT4_PKT5_llS5_PT6_ll16rocsparse_order_21rocsparse_index_base_b.num_agpr, 0
	.set _ZN9rocsparseL29bsrmmnt_small_blockdim_kernelILj64ELj16ELj2EliDF16_DF16_ffEEv20rocsparse_direction_T3_S2_llNS_24const_host_device_scalarIT7_EEPKT2_PKS2_PKT4_PKT5_llS5_PT6_ll16rocsparse_order_21rocsparse_index_base_b.numbered_sgpr, 26
	.set _ZN9rocsparseL29bsrmmnt_small_blockdim_kernelILj64ELj16ELj2EliDF16_DF16_ffEEv20rocsparse_direction_T3_S2_llNS_24const_host_device_scalarIT7_EEPKT2_PKS2_PKT4_PKT5_llS5_PT6_ll16rocsparse_order_21rocsparse_index_base_b.num_named_barrier, 0
	.set _ZN9rocsparseL29bsrmmnt_small_blockdim_kernelILj64ELj16ELj2EliDF16_DF16_ffEEv20rocsparse_direction_T3_S2_llNS_24const_host_device_scalarIT7_EEPKT2_PKS2_PKT4_PKT5_llS5_PT6_ll16rocsparse_order_21rocsparse_index_base_b.private_seg_size, 0
	.set _ZN9rocsparseL29bsrmmnt_small_blockdim_kernelILj64ELj16ELj2EliDF16_DF16_ffEEv20rocsparse_direction_T3_S2_llNS_24const_host_device_scalarIT7_EEPKT2_PKS2_PKT4_PKT5_llS5_PT6_ll16rocsparse_order_21rocsparse_index_base_b.uses_vcc, 1
	.set _ZN9rocsparseL29bsrmmnt_small_blockdim_kernelILj64ELj16ELj2EliDF16_DF16_ffEEv20rocsparse_direction_T3_S2_llNS_24const_host_device_scalarIT7_EEPKT2_PKS2_PKT4_PKT5_llS5_PT6_ll16rocsparse_order_21rocsparse_index_base_b.uses_flat_scratch, 0
	.set _ZN9rocsparseL29bsrmmnt_small_blockdim_kernelILj64ELj16ELj2EliDF16_DF16_ffEEv20rocsparse_direction_T3_S2_llNS_24const_host_device_scalarIT7_EEPKT2_PKS2_PKT4_PKT5_llS5_PT6_ll16rocsparse_order_21rocsparse_index_base_b.has_dyn_sized_stack, 0
	.set _ZN9rocsparseL29bsrmmnt_small_blockdim_kernelILj64ELj16ELj2EliDF16_DF16_ffEEv20rocsparse_direction_T3_S2_llNS_24const_host_device_scalarIT7_EEPKT2_PKS2_PKT4_PKT5_llS5_PT6_ll16rocsparse_order_21rocsparse_index_base_b.has_recursion, 0
	.set _ZN9rocsparseL29bsrmmnt_small_blockdim_kernelILj64ELj16ELj2EliDF16_DF16_ffEEv20rocsparse_direction_T3_S2_llNS_24const_host_device_scalarIT7_EEPKT2_PKS2_PKT4_PKT5_llS5_PT6_ll16rocsparse_order_21rocsparse_index_base_b.has_indirect_call, 0
	.section	.AMDGPU.csdata,"",@progbits
; Kernel info:
; codeLenInByte = 1336
; TotalNumSgprs: 28
; NumVgprs: 34
; ScratchSize: 0
; MemoryBound: 0
; FloatMode: 240
; IeeeMode: 1
; LDSByteSize: 640 bytes/workgroup (compile time only)
; SGPRBlocks: 0
; VGPRBlocks: 2
; NumSGPRsForWavesPerEU: 28
; NumVGPRsForWavesPerEU: 34
; NamedBarCnt: 0
; Occupancy: 16
; WaveLimiterHint : 0
; COMPUTE_PGM_RSRC2:SCRATCH_EN: 0
; COMPUTE_PGM_RSRC2:USER_SGPR: 2
; COMPUTE_PGM_RSRC2:TRAP_HANDLER: 0
; COMPUTE_PGM_RSRC2:TGID_X_EN: 1
; COMPUTE_PGM_RSRC2:TGID_Y_EN: 0
; COMPUTE_PGM_RSRC2:TGID_Z_EN: 0
; COMPUTE_PGM_RSRC2:TIDIG_COMP_CNT: 0
	.section	.text._ZN9rocsparseL29bsrmmnt_small_blockdim_kernelILj64ELj32ELj2EliDF16_DF16_ffEEv20rocsparse_direction_T3_S2_llNS_24const_host_device_scalarIT7_EEPKT2_PKS2_PKT4_PKT5_llS5_PT6_ll16rocsparse_order_21rocsparse_index_base_b,"axG",@progbits,_ZN9rocsparseL29bsrmmnt_small_blockdim_kernelILj64ELj32ELj2EliDF16_DF16_ffEEv20rocsparse_direction_T3_S2_llNS_24const_host_device_scalarIT7_EEPKT2_PKS2_PKT4_PKT5_llS5_PT6_ll16rocsparse_order_21rocsparse_index_base_b,comdat
	.globl	_ZN9rocsparseL29bsrmmnt_small_blockdim_kernelILj64ELj32ELj2EliDF16_DF16_ffEEv20rocsparse_direction_T3_S2_llNS_24const_host_device_scalarIT7_EEPKT2_PKS2_PKT4_PKT5_llS5_PT6_ll16rocsparse_order_21rocsparse_index_base_b ; -- Begin function _ZN9rocsparseL29bsrmmnt_small_blockdim_kernelILj64ELj32ELj2EliDF16_DF16_ffEEv20rocsparse_direction_T3_S2_llNS_24const_host_device_scalarIT7_EEPKT2_PKS2_PKT4_PKT5_llS5_PT6_ll16rocsparse_order_21rocsparse_index_base_b
	.p2align	8
	.type	_ZN9rocsparseL29bsrmmnt_small_blockdim_kernelILj64ELj32ELj2EliDF16_DF16_ffEEv20rocsparse_direction_T3_S2_llNS_24const_host_device_scalarIT7_EEPKT2_PKS2_PKT4_PKT5_llS5_PT6_ll16rocsparse_order_21rocsparse_index_base_b,@function
_ZN9rocsparseL29bsrmmnt_small_blockdim_kernelILj64ELj32ELj2EliDF16_DF16_ffEEv20rocsparse_direction_T3_S2_llNS_24const_host_device_scalarIT7_EEPKT2_PKS2_PKT4_PKT5_llS5_PT6_ll16rocsparse_order_21rocsparse_index_base_b: ; @_ZN9rocsparseL29bsrmmnt_small_blockdim_kernelILj64ELj32ELj2EliDF16_DF16_ffEEv20rocsparse_direction_T3_S2_llNS_24const_host_device_scalarIT7_EEPKT2_PKS2_PKT4_PKT5_llS5_PT6_ll16rocsparse_order_21rocsparse_index_base_b
; %bb.0:
	s_clause 0x2
	s_load_b96 s[16:18], s[0:1], 0x78
	s_load_b64 s[2:3], s[0:1], 0x20
	s_load_b64 s[24:25], s[0:1], 0x58
	s_wait_kmcnt 0x0
	s_bitcmp1_b32 s18, 0
	s_cselect_b32 s4, -1, 0
	s_delay_alu instid0(SALU_CYCLE_1)
	s_and_b32 vcc_lo, exec_lo, s4
	s_xor_b32 s4, s4, -1
	s_cbranch_vccnz .LBB75_2
; %bb.1:
	s_load_b32 s2, s[2:3], 0x0
.LBB75_2:
	s_and_not1_b32 vcc_lo, exec_lo, s4
	s_cbranch_vccnz .LBB75_4
; %bb.3:
	s_load_b32 s24, s[24:25], 0x0
.LBB75_4:
	s_wait_kmcnt 0x0
	s_cmp_eq_f32 s2, 0
	s_cselect_b32 s3, -1, 0
	s_cmp_eq_f32 s24, 1.0
	s_cselect_b32 s4, -1, 0
	s_delay_alu instid0(SALU_CYCLE_1) | instskip(NEXT) | instid1(SALU_CYCLE_1)
	s_and_b32 s3, s3, s4
	s_and_b32 vcc_lo, exec_lo, s3
	s_cbranch_vccnz .LBB75_30
; %bb.5:
	s_clause 0x1
	s_load_b32 s3, s[0:1], 0x94
	s_load_b96 s[20:22], s[0:1], 0x0
	s_bfe_u32 s4, ttmp6, 0x4000c
	s_and_b32 s5, ttmp6, 15
	s_add_co_i32 s4, s4, 1
	s_getreg_b32 s6, hwreg(HW_REG_IB_STS2, 6, 4)
	s_mul_i32 s4, ttmp9, s4
	s_delay_alu instid0(SALU_CYCLE_1) | instskip(SKIP_4) | instid1(SALU_CYCLE_1)
	s_add_co_i32 s5, s5, s4
	s_wait_kmcnt 0x0
	s_and_b32 s3, s3, 0xffff
	s_cmp_eq_u32 s6, 0
	s_cselect_b32 s4, ttmp9, s5
	v_mad_u32 v2, s4, s3, v0
	s_mov_b32 s3, exec_lo
	s_delay_alu instid0(VALU_DEP_1) | instskip(NEXT) | instid1(VALU_DEP_1)
	v_lshrrev_b32_e32 v1, 6, v2
	v_cmpx_gt_i32_e64 s21, v1
	s_cbranch_execz .LBB75_30
; %bb.6:
	s_cmp_lt_i32 s22, 1
	s_cbranch_scc1 .LBB75_30
; %bb.7:
	s_load_b256 s[4:11], s[0:1], 0x28
	v_dual_lshlrev_b32 v1, 3, v1 :: v_dual_lshrrev_b32 v4, 5, v2
	s_load_b128 s[12:15], s[0:1], 0x60
	s_cmp_neq_f32 s24, 0
	s_mov_b32 s19, 0
	s_mov_b32 s18, s17
	v_lshrrev_b32_e32 v3, 5, v0
	s_cselect_b32 s3, -1, 0
	s_cmp_lg_u32 s16, 1
	v_and_b32_e32 v0, 31, v0
	s_cselect_b32 s16, -1, 0
	s_cmp_eq_u32 s20, 0
	v_lshl_add_u32 v20, v3, 7, 0x180
	v_mul_u32_u24_e32 v21, 0xc0, v3
	v_mul_u32_u24_e32 v16, 6, v0
	s_delay_alu instid0(VALU_DEP_3)
	v_lshl_or_b32 v22, v0, 2, v20
	s_wait_kmcnt 0x0
	global_load_b128 v[8:11], v1, s[4:5]
	s_wait_xcnt 0x0
	v_mov_b32_e32 v1, 0
	s_load_b64 s[4:5], s[0:1], 0x48
	s_wait_xcnt 0x0
	s_cselect_b32 s1, -1, 0
	v_add_nc_u32_e32 v23, v21, v16
	v_cndmask_b32_e64 v6, 0, 1, s1
	v_dual_mov_b32 v5, v1 :: v_dual_mov_b32 v3, v1
	v_mov_b32_e32 v15, v1
	s_and_b32 s1, s1, exec_lo
	s_delay_alu instid0(VALU_DEP_2) | instskip(SKIP_1) | instid1(VALU_DEP_1)
	v_mul_u64_e32 v[12:13], s[14:15], v[4:5]
	v_bfe_u32 v5, v2, 5, 1
	v_dual_lshlrev_b32 v2, 2, v4 :: v_dual_lshlrev_b32 v4, v6, v5
	s_delay_alu instid0(VALU_DEP_1) | instskip(NEXT) | instid1(VALU_DEP_2)
	v_add_nc_u64_e32 v[2:3], s[12:13], v[2:3]
	v_lshlrev_b32_e32 v14, 1, v4
	s_wait_loadcnt 0x0
	v_sub_nc_u64_e64 v[4:5], v[8:9], s[18:19]
	v_sub_nc_u64_e64 v[6:7], v[10:11], s[18:19]
	v_cmp_lt_i64_e64 s0, v[8:9], v[10:11]
	v_add_nc_u64_e32 v[8:9], s[8:9], v[14:15]
	v_lshl_add_u64 v[10:11], v[12:13], 2, s[12:13]
	s_cselect_b32 s18, 2, 4
	s_mov_b32 s8, s19
	s_branch .LBB75_9
.LBB75_8:                               ;   in Loop: Header=BB75_9 Depth=1
	s_wait_xcnt 0x0
	s_or_b32 exec_lo, exec_lo, s1
	s_add_co_i32 s8, s8, 32
	s_delay_alu instid0(SALU_CYCLE_1)
	s_cmp_lt_i32 s8, s22
	s_cbranch_scc0 .LBB75_30
.LBB75_9:                               ; =>This Loop Header: Depth=1
                                        ;     Child Loop BB75_12 Depth 2
                                        ;       Child Loop BB75_16 Depth 3
	v_dual_mov_b32 v24, 0 :: v_dual_bitop2_b32 v12, s8, v0 bitop3:0x54
	s_delay_alu instid0(VALU_DEP_1)
	v_ashrrev_i32_e32 v13, 31, v12
	s_and_saveexec_b32 s9, s0
	s_cbranch_execz .LBB75_18
; %bb.10:                               ;   in Loop: Header=BB75_9 Depth=1
	v_mov_b64_e32 v[16:17], v[4:5]
	s_delay_alu instid0(VALU_DEP_2)
	v_lshl_add_u64 v[14:15], v[12:13], 1, s[10:11]
	v_mov_b32_e32 v24, 0
	s_mov_b32 s12, 0
	v_cmp_gt_i32_e32 vcc_lo, s22, v12
	s_branch .LBB75_12
.LBB75_11:                              ;   in Loop: Header=BB75_12 Depth=2
	s_or_b32 exec_lo, exec_lo, s1
	v_add_nc_u64_e32 v[16:17], 32, v[16:17]
	s_delay_alu instid0(VALU_DEP_1) | instskip(SKIP_1) | instid1(SALU_CYCLE_1)
	v_cmp_ge_i64_e64 s1, v[16:17], v[6:7]
	s_or_b32 s12, s1, s12
	s_and_not1_b32 exec_lo, exec_lo, s12
	s_cbranch_execz .LBB75_17
.LBB75_12:                              ;   Parent Loop BB75_9 Depth=1
                                        ; =>  This Loop Header: Depth=2
                                        ;       Child Loop BB75_16 Depth 3
	s_delay_alu instid0(VALU_DEP_4) | instskip(SKIP_3) | instid1(VALU_DEP_3)
	v_add_nc_u64_e32 v[18:19], v[16:17], v[0:1]
	v_dual_mov_b32 v27, 0 :: v_dual_mov_b32 v25, 0
	v_mov_b32_e32 v26, 0
	s_mov_b32 s13, exec_lo
	v_cmpx_lt_i64_e64 v[18:19], v[6:7]
	s_cbranch_execz .LBB75_14
; %bb.13:                               ;   in Loop: Header=BB75_12 Depth=2
	v_lshl_add_u64 v[26:27], v[18:19], 2, s[6:7]
	v_lshl_add_u64 v[18:19], v[18:19], 3, v[8:9]
	global_load_b32 v27, v[26:27], off
	v_add_nc_u64_e32 v[28:29], s[18:19], v[18:19]
	s_clause 0x1
	global_load_u16 v25, v[18:19], off
	global_load_u16 v26, v[28:29], off
	s_wait_loadcnt 0x2
	s_wait_xcnt 0x1
	v_subrev_nc_u32_e32 v18, s17, v27
	s_delay_alu instid0(VALU_DEP_1)
	v_lshlrev_b32_e32 v27, 1, v18
.LBB75_14:                              ;   in Loop: Header=BB75_12 Depth=2
	s_wait_xcnt 0x0
	s_or_b32 exec_lo, exec_lo, s13
	ds_store_b32 v22, v27
	s_wait_loadcnt 0x1
	ds_store_b16 v23, v25
	s_wait_loadcnt 0x0
	ds_store_b16 v23, v26 offset:2
	s_wait_dscnt 0x0
	s_barrier_signal -1
	s_barrier_wait -1
	s_and_saveexec_b32 s1, vcc_lo
	s_cbranch_execz .LBB75_11
; %bb.15:                               ;   in Loop: Header=BB75_12 Depth=2
	v_mov_b32_e32 v18, v21
	s_mov_b32 s13, 0
.LBB75_16:                              ;   Parent Loop BB75_9 Depth=1
                                        ;     Parent Loop BB75_12 Depth=2
                                        ; =>    This Inner Loop Header: Depth=3
	s_delay_alu instid0(SALU_CYCLE_1) | instskip(SKIP_1) | instid1(SALU_CYCLE_1)
	v_add_nc_u32_e32 v19, s13, v20
	s_add_co_i32 s13, s13, 8
	s_cmp_lg_u32 s13, 0x80
	ds_load_b64 v[26:27], v19
	s_wait_dscnt 0x0
	v_dual_mov_b32 v28, v26 :: v_dual_ashrrev_i32 v29, 31, v26
	v_dual_add_nc_u32 v30, 1, v26 :: v_dual_mov_b32 v32, v27
	v_dual_add_nc_u32 v26, 1, v27 :: v_dual_ashrrev_i32 v33, 31, v27
	s_wait_kmcnt 0x0
	s_delay_alu instid0(VALU_DEP_3) | instskip(NEXT) | instid1(VALU_DEP_3)
	v_mul_u64_e32 v[28:29], s[4:5], v[28:29]
	v_ashrrev_i32_e32 v31, 31, v30
	s_delay_alu instid0(VALU_DEP_3) | instskip(SKIP_1) | instid1(VALU_DEP_3)
	v_ashrrev_i32_e32 v27, 31, v26
	v_mul_u64_e32 v[32:33], s[4:5], v[32:33]
	v_mul_u64_e32 v[30:31], s[4:5], v[30:31]
	s_delay_alu instid0(VALU_DEP_3)
	v_mul_u64_e32 v[26:27], s[4:5], v[26:27]
	v_lshl_add_u64 v[28:29], v[28:29], 1, v[14:15]
	global_load_u16 v19, v[28:29], off
	s_wait_xcnt 0x0
	v_lshl_add_u64 v[28:29], v[30:31], 1, v[14:15]
	v_lshl_add_u64 v[30:31], v[32:33], 1, v[14:15]
	;; [unrolled: 1-line block ×3, first 2 shown]
	s_clause 0x2
	global_load_u16 v25, v[28:29], off
	global_load_u16 v28, v[30:31], off
	;; [unrolled: 1-line block ×3, first 2 shown]
	s_wait_xcnt 0x0
	ds_load_b32 v26, v18
	ds_load_u16 v27, v18 offset:6
	ds_load_u16 v30, v18 offset:8
	v_add_nc_u32_e32 v18, 12, v18
	s_wait_loadcnt_dscnt 0x302
	v_fma_mix_f32 v19, v26, v19, v24 op_sel_hi:[1,1,0]
	s_wait_loadcnt 0x2
	s_delay_alu instid0(VALU_DEP_1) | instskip(SKIP_1) | instid1(VALU_DEP_1)
	v_fma_mix_f32 v19, v26, v25, v19 op_sel:[1,0,0] op_sel_hi:[1,1,0]
	s_wait_loadcnt_dscnt 0x101
	v_fma_mix_f32 v19, v27, v28, v19 op_sel_hi:[1,1,0]
	s_wait_loadcnt_dscnt 0x0
	s_delay_alu instid0(VALU_DEP_1)
	v_fma_mix_f32 v24, v30, v29, v19 op_sel_hi:[1,1,0]
	s_cbranch_scc1 .LBB75_16
	s_branch .LBB75_11
.LBB75_17:                              ;   in Loop: Header=BB75_9 Depth=1
	s_or_b32 exec_lo, exec_lo, s12
.LBB75_18:                              ;   in Loop: Header=BB75_9 Depth=1
	s_delay_alu instid0(SALU_CYCLE_1) | instskip(NEXT) | instid1(SALU_CYCLE_1)
	s_or_b32 exec_lo, exec_lo, s9
	s_mov_b32 s1, exec_lo
	v_cmpx_gt_i32_e64 s22, v12
	s_cbranch_execz .LBB75_8
; %bb.19:                               ;   in Loop: Header=BB75_9 Depth=1
	s_and_b32 vcc_lo, exec_lo, s3
	s_cbranch_vccz .LBB75_25
; %bb.20:                               ;   in Loop: Header=BB75_9 Depth=1
	s_and_b32 vcc_lo, exec_lo, s16
	s_mov_b32 s9, -1
	s_cbranch_vccz .LBB75_22
; %bb.21:                               ;   in Loop: Header=BB75_9 Depth=1
	v_lshl_add_u64 v[14:15], v[12:13], 2, v[10:11]
	v_mul_f32_e32 v17, s2, v24
	s_mov_b32 s9, 0
	global_load_b32 v16, v[14:15], off
	s_wait_loadcnt 0x0
	v_fmac_f32_e32 v17, s24, v16
	global_store_b32 v[14:15], v17, off
.LBB75_22:                              ;   in Loop: Header=BB75_9 Depth=1
	s_and_not1_b32 vcc_lo, exec_lo, s9
	s_cbranch_vccnz .LBB75_24
; %bb.23:                               ;   in Loop: Header=BB75_9 Depth=1
	s_wait_xcnt 0x0
	v_mul_u64_e32 v[14:15], s[14:15], v[12:13]
	v_mul_f32_e32 v17, s2, v24
	s_delay_alu instid0(VALU_DEP_2)
	v_lshl_add_u64 v[14:15], v[14:15], 2, v[2:3]
	global_load_b32 v16, v[14:15], off
	s_wait_loadcnt 0x0
	v_fmac_f32_e32 v17, s24, v16
	global_store_b32 v[14:15], v17, off
.LBB75_24:                              ;   in Loop: Header=BB75_9 Depth=1
	s_cbranch_execnz .LBB75_8
	s_branch .LBB75_26
.LBB75_25:                              ;   in Loop: Header=BB75_9 Depth=1
.LBB75_26:                              ;   in Loop: Header=BB75_9 Depth=1
	s_wait_xcnt 0x0
	v_mul_f32_e32 v14, s2, v24
	s_and_b32 vcc_lo, exec_lo, s16
	s_mov_b32 s9, -1
	s_cbranch_vccz .LBB75_28
; %bb.27:                               ;   in Loop: Header=BB75_9 Depth=1
	v_lshl_add_u64 v[16:17], v[12:13], 2, v[10:11]
	s_mov_b32 s9, 0
	global_store_b32 v[16:17], v14, off
.LBB75_28:                              ;   in Loop: Header=BB75_9 Depth=1
	s_and_not1_b32 vcc_lo, exec_lo, s9
	s_cbranch_vccnz .LBB75_8
; %bb.29:                               ;   in Loop: Header=BB75_9 Depth=1
	v_mul_u64_e32 v[12:13], s[14:15], v[12:13]
	s_delay_alu instid0(VALU_DEP_1)
	v_lshl_add_u64 v[12:13], v[12:13], 2, v[2:3]
	global_store_b32 v[12:13], v14, off
	s_branch .LBB75_8
.LBB75_30:
	s_endpgm
	.section	.rodata,"a",@progbits
	.p2align	6, 0x0
	.amdhsa_kernel _ZN9rocsparseL29bsrmmnt_small_blockdim_kernelILj64ELj32ELj2EliDF16_DF16_ffEEv20rocsparse_direction_T3_S2_llNS_24const_host_device_scalarIT7_EEPKT2_PKS2_PKT4_PKT5_llS5_PT6_ll16rocsparse_order_21rocsparse_index_base_b
		.amdhsa_group_segment_fixed_size 640
		.amdhsa_private_segment_fixed_size 0
		.amdhsa_kernarg_size 392
		.amdhsa_user_sgpr_count 2
		.amdhsa_user_sgpr_dispatch_ptr 0
		.amdhsa_user_sgpr_queue_ptr 0
		.amdhsa_user_sgpr_kernarg_segment_ptr 1
		.amdhsa_user_sgpr_dispatch_id 0
		.amdhsa_user_sgpr_kernarg_preload_length 0
		.amdhsa_user_sgpr_kernarg_preload_offset 0
		.amdhsa_user_sgpr_private_segment_size 0
		.amdhsa_wavefront_size32 1
		.amdhsa_uses_dynamic_stack 0
		.amdhsa_enable_private_segment 0
		.amdhsa_system_sgpr_workgroup_id_x 1
		.amdhsa_system_sgpr_workgroup_id_y 0
		.amdhsa_system_sgpr_workgroup_id_z 0
		.amdhsa_system_sgpr_workgroup_info 0
		.amdhsa_system_vgpr_workitem_id 0
		.amdhsa_next_free_vgpr 34
		.amdhsa_next_free_sgpr 26
		.amdhsa_named_barrier_count 0
		.amdhsa_reserve_vcc 1
		.amdhsa_float_round_mode_32 0
		.amdhsa_float_round_mode_16_64 0
		.amdhsa_float_denorm_mode_32 3
		.amdhsa_float_denorm_mode_16_64 3
		.amdhsa_fp16_overflow 0
		.amdhsa_memory_ordered 1
		.amdhsa_forward_progress 1
		.amdhsa_inst_pref_size 11
		.amdhsa_round_robin_scheduling 0
		.amdhsa_exception_fp_ieee_invalid_op 0
		.amdhsa_exception_fp_denorm_src 0
		.amdhsa_exception_fp_ieee_div_zero 0
		.amdhsa_exception_fp_ieee_overflow 0
		.amdhsa_exception_fp_ieee_underflow 0
		.amdhsa_exception_fp_ieee_inexact 0
		.amdhsa_exception_int_div_zero 0
	.end_amdhsa_kernel
	.section	.text._ZN9rocsparseL29bsrmmnt_small_blockdim_kernelILj64ELj32ELj2EliDF16_DF16_ffEEv20rocsparse_direction_T3_S2_llNS_24const_host_device_scalarIT7_EEPKT2_PKS2_PKT4_PKT5_llS5_PT6_ll16rocsparse_order_21rocsparse_index_base_b,"axG",@progbits,_ZN9rocsparseL29bsrmmnt_small_blockdim_kernelILj64ELj32ELj2EliDF16_DF16_ffEEv20rocsparse_direction_T3_S2_llNS_24const_host_device_scalarIT7_EEPKT2_PKS2_PKT4_PKT5_llS5_PT6_ll16rocsparse_order_21rocsparse_index_base_b,comdat
.Lfunc_end75:
	.size	_ZN9rocsparseL29bsrmmnt_small_blockdim_kernelILj64ELj32ELj2EliDF16_DF16_ffEEv20rocsparse_direction_T3_S2_llNS_24const_host_device_scalarIT7_EEPKT2_PKS2_PKT4_PKT5_llS5_PT6_ll16rocsparse_order_21rocsparse_index_base_b, .Lfunc_end75-_ZN9rocsparseL29bsrmmnt_small_blockdim_kernelILj64ELj32ELj2EliDF16_DF16_ffEEv20rocsparse_direction_T3_S2_llNS_24const_host_device_scalarIT7_EEPKT2_PKS2_PKT4_PKT5_llS5_PT6_ll16rocsparse_order_21rocsparse_index_base_b
                                        ; -- End function
	.set _ZN9rocsparseL29bsrmmnt_small_blockdim_kernelILj64ELj32ELj2EliDF16_DF16_ffEEv20rocsparse_direction_T3_S2_llNS_24const_host_device_scalarIT7_EEPKT2_PKS2_PKT4_PKT5_llS5_PT6_ll16rocsparse_order_21rocsparse_index_base_b.num_vgpr, 34
	.set _ZN9rocsparseL29bsrmmnt_small_blockdim_kernelILj64ELj32ELj2EliDF16_DF16_ffEEv20rocsparse_direction_T3_S2_llNS_24const_host_device_scalarIT7_EEPKT2_PKS2_PKT4_PKT5_llS5_PT6_ll16rocsparse_order_21rocsparse_index_base_b.num_agpr, 0
	.set _ZN9rocsparseL29bsrmmnt_small_blockdim_kernelILj64ELj32ELj2EliDF16_DF16_ffEEv20rocsparse_direction_T3_S2_llNS_24const_host_device_scalarIT7_EEPKT2_PKS2_PKT4_PKT5_llS5_PT6_ll16rocsparse_order_21rocsparse_index_base_b.numbered_sgpr, 26
	.set _ZN9rocsparseL29bsrmmnt_small_blockdim_kernelILj64ELj32ELj2EliDF16_DF16_ffEEv20rocsparse_direction_T3_S2_llNS_24const_host_device_scalarIT7_EEPKT2_PKS2_PKT4_PKT5_llS5_PT6_ll16rocsparse_order_21rocsparse_index_base_b.num_named_barrier, 0
	.set _ZN9rocsparseL29bsrmmnt_small_blockdim_kernelILj64ELj32ELj2EliDF16_DF16_ffEEv20rocsparse_direction_T3_S2_llNS_24const_host_device_scalarIT7_EEPKT2_PKS2_PKT4_PKT5_llS5_PT6_ll16rocsparse_order_21rocsparse_index_base_b.private_seg_size, 0
	.set _ZN9rocsparseL29bsrmmnt_small_blockdim_kernelILj64ELj32ELj2EliDF16_DF16_ffEEv20rocsparse_direction_T3_S2_llNS_24const_host_device_scalarIT7_EEPKT2_PKS2_PKT4_PKT5_llS5_PT6_ll16rocsparse_order_21rocsparse_index_base_b.uses_vcc, 1
	.set _ZN9rocsparseL29bsrmmnt_small_blockdim_kernelILj64ELj32ELj2EliDF16_DF16_ffEEv20rocsparse_direction_T3_S2_llNS_24const_host_device_scalarIT7_EEPKT2_PKS2_PKT4_PKT5_llS5_PT6_ll16rocsparse_order_21rocsparse_index_base_b.uses_flat_scratch, 0
	.set _ZN9rocsparseL29bsrmmnt_small_blockdim_kernelILj64ELj32ELj2EliDF16_DF16_ffEEv20rocsparse_direction_T3_S2_llNS_24const_host_device_scalarIT7_EEPKT2_PKS2_PKT4_PKT5_llS5_PT6_ll16rocsparse_order_21rocsparse_index_base_b.has_dyn_sized_stack, 0
	.set _ZN9rocsparseL29bsrmmnt_small_blockdim_kernelILj64ELj32ELj2EliDF16_DF16_ffEEv20rocsparse_direction_T3_S2_llNS_24const_host_device_scalarIT7_EEPKT2_PKS2_PKT4_PKT5_llS5_PT6_ll16rocsparse_order_21rocsparse_index_base_b.has_recursion, 0
	.set _ZN9rocsparseL29bsrmmnt_small_blockdim_kernelILj64ELj32ELj2EliDF16_DF16_ffEEv20rocsparse_direction_T3_S2_llNS_24const_host_device_scalarIT7_EEPKT2_PKS2_PKT4_PKT5_llS5_PT6_ll16rocsparse_order_21rocsparse_index_base_b.has_indirect_call, 0
	.section	.AMDGPU.csdata,"",@progbits
; Kernel info:
; codeLenInByte = 1340
; TotalNumSgprs: 28
; NumVgprs: 34
; ScratchSize: 0
; MemoryBound: 0
; FloatMode: 240
; IeeeMode: 1
; LDSByteSize: 640 bytes/workgroup (compile time only)
; SGPRBlocks: 0
; VGPRBlocks: 2
; NumSGPRsForWavesPerEU: 28
; NumVGPRsForWavesPerEU: 34
; NamedBarCnt: 0
; Occupancy: 16
; WaveLimiterHint : 0
; COMPUTE_PGM_RSRC2:SCRATCH_EN: 0
; COMPUTE_PGM_RSRC2:USER_SGPR: 2
; COMPUTE_PGM_RSRC2:TRAP_HANDLER: 0
; COMPUTE_PGM_RSRC2:TGID_X_EN: 1
; COMPUTE_PGM_RSRC2:TGID_Y_EN: 0
; COMPUTE_PGM_RSRC2:TGID_Z_EN: 0
; COMPUTE_PGM_RSRC2:TIDIG_COMP_CNT: 0
	.section	.text._ZN9rocsparseL29bsrmmnt_small_blockdim_kernelILj64ELj64ELj2EliDF16_DF16_ffEEv20rocsparse_direction_T3_S2_llNS_24const_host_device_scalarIT7_EEPKT2_PKS2_PKT4_PKT5_llS5_PT6_ll16rocsparse_order_21rocsparse_index_base_b,"axG",@progbits,_ZN9rocsparseL29bsrmmnt_small_blockdim_kernelILj64ELj64ELj2EliDF16_DF16_ffEEv20rocsparse_direction_T3_S2_llNS_24const_host_device_scalarIT7_EEPKT2_PKS2_PKT4_PKT5_llS5_PT6_ll16rocsparse_order_21rocsparse_index_base_b,comdat
	.globl	_ZN9rocsparseL29bsrmmnt_small_blockdim_kernelILj64ELj64ELj2EliDF16_DF16_ffEEv20rocsparse_direction_T3_S2_llNS_24const_host_device_scalarIT7_EEPKT2_PKS2_PKT4_PKT5_llS5_PT6_ll16rocsparse_order_21rocsparse_index_base_b ; -- Begin function _ZN9rocsparseL29bsrmmnt_small_blockdim_kernelILj64ELj64ELj2EliDF16_DF16_ffEEv20rocsparse_direction_T3_S2_llNS_24const_host_device_scalarIT7_EEPKT2_PKS2_PKT4_PKT5_llS5_PT6_ll16rocsparse_order_21rocsparse_index_base_b
	.p2align	8
	.type	_ZN9rocsparseL29bsrmmnt_small_blockdim_kernelILj64ELj64ELj2EliDF16_DF16_ffEEv20rocsparse_direction_T3_S2_llNS_24const_host_device_scalarIT7_EEPKT2_PKS2_PKT4_PKT5_llS5_PT6_ll16rocsparse_order_21rocsparse_index_base_b,@function
_ZN9rocsparseL29bsrmmnt_small_blockdim_kernelILj64ELj64ELj2EliDF16_DF16_ffEEv20rocsparse_direction_T3_S2_llNS_24const_host_device_scalarIT7_EEPKT2_PKS2_PKT4_PKT5_llS5_PT6_ll16rocsparse_order_21rocsparse_index_base_b: ; @_ZN9rocsparseL29bsrmmnt_small_blockdim_kernelILj64ELj64ELj2EliDF16_DF16_ffEEv20rocsparse_direction_T3_S2_llNS_24const_host_device_scalarIT7_EEPKT2_PKS2_PKT4_PKT5_llS5_PT6_ll16rocsparse_order_21rocsparse_index_base_b
; %bb.0:
	s_clause 0x2
	s_load_b96 s[16:18], s[0:1], 0x78
	s_load_b64 s[2:3], s[0:1], 0x20
	s_load_b64 s[24:25], s[0:1], 0x58
	s_wait_kmcnt 0x0
	s_bitcmp1_b32 s18, 0
	s_cselect_b32 s4, -1, 0
	s_delay_alu instid0(SALU_CYCLE_1)
	s_and_b32 vcc_lo, exec_lo, s4
	s_xor_b32 s4, s4, -1
	s_cbranch_vccnz .LBB76_2
; %bb.1:
	s_load_b32 s2, s[2:3], 0x0
.LBB76_2:
	s_and_not1_b32 vcc_lo, exec_lo, s4
	s_cbranch_vccnz .LBB76_4
; %bb.3:
	s_load_b32 s24, s[24:25], 0x0
.LBB76_4:
	s_wait_kmcnt 0x0
	s_cmp_eq_f32 s2, 0
	s_cselect_b32 s3, -1, 0
	s_cmp_eq_f32 s24, 1.0
	s_cselect_b32 s4, -1, 0
	s_delay_alu instid0(SALU_CYCLE_1) | instskip(NEXT) | instid1(SALU_CYCLE_1)
	s_and_b32 s3, s3, s4
	s_and_b32 vcc_lo, exec_lo, s3
	s_cbranch_vccnz .LBB76_30
; %bb.5:
	s_clause 0x1
	s_load_b32 s3, s[0:1], 0x94
	s_load_b96 s[20:22], s[0:1], 0x0
	s_bfe_u32 s4, ttmp6, 0x4000c
	s_and_b32 s5, ttmp6, 15
	s_add_co_i32 s4, s4, 1
	s_getreg_b32 s6, hwreg(HW_REG_IB_STS2, 6, 4)
	s_mul_i32 s4, ttmp9, s4
	s_delay_alu instid0(SALU_CYCLE_1) | instskip(SKIP_4) | instid1(SALU_CYCLE_1)
	s_add_co_i32 s5, s5, s4
	s_wait_kmcnt 0x0
	s_and_b32 s3, s3, 0xffff
	s_cmp_eq_u32 s6, 0
	s_cselect_b32 s4, ttmp9, s5
	v_mad_u32 v2, s4, s3, v0
	s_mov_b32 s3, exec_lo
	s_delay_alu instid0(VALU_DEP_1) | instskip(NEXT) | instid1(VALU_DEP_1)
	v_lshrrev_b32_e32 v1, 7, v2
	v_cmpx_gt_i32_e64 s21, v1
	s_cbranch_execz .LBB76_30
; %bb.6:
	s_cmp_lt_i32 s22, 1
	s_cbranch_scc1 .LBB76_30
; %bb.7:
	s_load_b256 s[4:11], s[0:1], 0x28
	v_dual_lshlrev_b32 v1, 3, v1 :: v_dual_lshrrev_b32 v4, 6, v2
	s_load_b128 s[12:15], s[0:1], 0x60
	v_bfe_u32 v3, v2, 6, 1
	s_cmp_neq_f32 s24, 0
	s_mov_b32 s19, 0
	s_mov_b32 s18, s17
	v_lshl_add_u32 v20, v0, 2, 0x180
	s_cselect_b32 s3, -1, 0
	s_cmp_lg_u32 s16, 1
	v_mul_u32_u24_e32 v21, 6, v0
	s_cselect_b32 s16, -1, 0
	s_cmp_eq_u32 s20, 0
	v_lshlrev_b32_e32 v2, 2, v4
	s_wait_kmcnt 0x0
	global_load_b128 v[8:11], v1, s[4:5]
	s_wait_xcnt 0x0
	v_mov_b32_e32 v1, 0
	s_load_b64 s[4:5], s[0:1], 0x48
	s_wait_xcnt 0x0
	s_cselect_b32 s1, -1, 0
	s_delay_alu instid0(VALU_DEP_1) | instskip(NEXT) | instid1(VALU_DEP_1)
	v_mov_b32_e32 v5, v1
	v_mul_u64_e32 v[12:13], s[14:15], v[4:5]
	v_cndmask_b32_e64 v5, 0, 1, s1
	s_and_b32 s1, s1, exec_lo
	s_delay_alu instid0(VALU_DEP_1) | instskip(SKIP_1) | instid1(VALU_DEP_2)
	v_lshlrev_b32_e32 v4, v5, v3
	v_dual_mov_b32 v3, v1 :: v_dual_mov_b32 v15, v1
	v_lshlrev_b32_e32 v14, 1, v4
	s_delay_alu instid0(VALU_DEP_2)
	v_add_nc_u64_e32 v[2:3], s[12:13], v[2:3]
	s_wait_loadcnt 0x0
	v_sub_nc_u64_e64 v[4:5], v[8:9], s[18:19]
	v_sub_nc_u64_e64 v[6:7], v[10:11], s[18:19]
	v_cmp_lt_i64_e64 s0, v[8:9], v[10:11]
	v_add_nc_u64_e32 v[8:9], s[8:9], v[14:15]
	v_lshl_add_u64 v[10:11], v[12:13], 2, s[12:13]
	s_cselect_b32 s18, 2, 4
	s_mov_b32 s8, s19
	s_branch .LBB76_9
.LBB76_8:                               ;   in Loop: Header=BB76_9 Depth=1
	s_wait_xcnt 0x0
	s_or_b32 exec_lo, exec_lo, s1
	s_add_co_i32 s8, s8, 64
	s_delay_alu instid0(SALU_CYCLE_1)
	s_cmp_lt_i32 s8, s22
	s_cbranch_scc0 .LBB76_30
.LBB76_9:                               ; =>This Loop Header: Depth=1
                                        ;     Child Loop BB76_12 Depth 2
                                        ;       Child Loop BB76_16 Depth 3
	v_dual_mov_b32 v22, 0 :: v_dual_bitop2_b32 v12, s8, v0 bitop3:0x54
	s_delay_alu instid0(VALU_DEP_1)
	v_ashrrev_i32_e32 v13, 31, v12
	s_and_saveexec_b32 s9, s0
	s_cbranch_execz .LBB76_18
; %bb.10:                               ;   in Loop: Header=BB76_9 Depth=1
	v_mov_b64_e32 v[16:17], v[4:5]
	s_delay_alu instid0(VALU_DEP_2)
	v_lshl_add_u64 v[14:15], v[12:13], 1, s[10:11]
	v_mov_b32_e32 v22, 0
	s_mov_b32 s12, 0
	v_cmp_gt_i32_e32 vcc_lo, s22, v12
	s_branch .LBB76_12
.LBB76_11:                              ;   in Loop: Header=BB76_12 Depth=2
	s_or_b32 exec_lo, exec_lo, s1
	v_add_nc_u64_e32 v[16:17], 64, v[16:17]
	s_delay_alu instid0(VALU_DEP_1) | instskip(SKIP_1) | instid1(SALU_CYCLE_1)
	v_cmp_ge_i64_e64 s1, v[16:17], v[6:7]
	s_or_b32 s12, s1, s12
	s_and_not1_b32 exec_lo, exec_lo, s12
	s_cbranch_execz .LBB76_17
.LBB76_12:                              ;   Parent Loop BB76_9 Depth=1
                                        ; =>  This Loop Header: Depth=2
                                        ;       Child Loop BB76_16 Depth 3
	s_delay_alu instid0(VALU_DEP_4) | instskip(SKIP_3) | instid1(VALU_DEP_3)
	v_add_nc_u64_e32 v[18:19], v[16:17], v[0:1]
	v_dual_mov_b32 v25, 0 :: v_dual_mov_b32 v23, 0
	v_mov_b32_e32 v24, 0
	s_mov_b32 s13, exec_lo
	v_cmpx_lt_i64_e64 v[18:19], v[6:7]
	s_cbranch_execz .LBB76_14
; %bb.13:                               ;   in Loop: Header=BB76_12 Depth=2
	v_lshl_add_u64 v[24:25], v[18:19], 2, s[6:7]
	v_lshl_add_u64 v[18:19], v[18:19], 3, v[8:9]
	global_load_b32 v25, v[24:25], off
	v_add_nc_u64_e32 v[26:27], s[18:19], v[18:19]
	s_clause 0x1
	global_load_u16 v23, v[18:19], off
	global_load_u16 v24, v[26:27], off
	s_wait_loadcnt 0x2
	s_wait_xcnt 0x1
	v_subrev_nc_u32_e32 v18, s17, v25
	s_delay_alu instid0(VALU_DEP_1)
	v_lshlrev_b32_e32 v25, 1, v18
.LBB76_14:                              ;   in Loop: Header=BB76_12 Depth=2
	s_wait_xcnt 0x0
	s_or_b32 exec_lo, exec_lo, s13
	ds_store_b32 v20, v25
	s_wait_loadcnt 0x1
	ds_store_b16 v21, v23
	s_wait_loadcnt 0x0
	ds_store_b16 v21, v24 offset:2
	s_wait_dscnt 0x0
	s_barrier_signal -1
	s_barrier_wait -1
	s_and_saveexec_b32 s1, vcc_lo
	s_cbranch_execz .LBB76_11
; %bb.15:                               ;   in Loop: Header=BB76_12 Depth=2
	v_mov_b32_e32 v18, 0
	s_mov_b32 s13, 0
.LBB76_16:                              ;   Parent Loop BB76_9 Depth=1
                                        ;     Parent Loop BB76_12 Depth=2
                                        ; =>    This Inner Loop Header: Depth=3
	s_delay_alu instid0(SALU_CYCLE_1) | instskip(SKIP_1) | instid1(SALU_CYCLE_1)
	v_add_nc_u32_e64 v19, 0x180, s13
	s_add_co_i32 s13, s13, 8
	s_cmp_lg_u32 s13, 0x100
	ds_load_b64 v[24:25], v19
	s_wait_dscnt 0x0
	v_dual_mov_b32 v26, v24 :: v_dual_ashrrev_i32 v27, 31, v24
	v_dual_add_nc_u32 v28, 1, v24 :: v_dual_ashrrev_i32 v31, 31, v25
	v_dual_add_nc_u32 v24, 1, v25 :: v_dual_mov_b32 v30, v25
	s_wait_kmcnt 0x0
	s_delay_alu instid0(VALU_DEP_3) | instskip(NEXT) | instid1(VALU_DEP_3)
	v_mul_u64_e32 v[26:27], s[4:5], v[26:27]
	v_ashrrev_i32_e32 v29, 31, v28
	s_delay_alu instid0(VALU_DEP_3) | instskip(SKIP_1) | instid1(VALU_DEP_3)
	v_ashrrev_i32_e32 v25, 31, v24
	v_mul_u64_e32 v[30:31], s[4:5], v[30:31]
	v_mul_u64_e32 v[28:29], s[4:5], v[28:29]
	s_delay_alu instid0(VALU_DEP_3)
	v_mul_u64_e32 v[24:25], s[4:5], v[24:25]
	v_lshl_add_u64 v[26:27], v[26:27], 1, v[14:15]
	global_load_u16 v19, v[26:27], off
	s_wait_xcnt 0x0
	v_lshl_add_u64 v[26:27], v[28:29], 1, v[14:15]
	v_lshl_add_u64 v[28:29], v[30:31], 1, v[14:15]
	;; [unrolled: 1-line block ×3, first 2 shown]
	s_clause 0x2
	global_load_u16 v23, v[26:27], off
	global_load_u16 v26, v[28:29], off
	;; [unrolled: 1-line block ×3, first 2 shown]
	s_wait_xcnt 0x0
	ds_load_b32 v24, v18
	ds_load_u16 v25, v18 offset:6
	ds_load_u16 v28, v18 offset:8
	v_add_nc_u32_e32 v18, 12, v18
	s_wait_loadcnt_dscnt 0x302
	v_fma_mix_f32 v19, v24, v19, v22 op_sel_hi:[1,1,0]
	s_wait_loadcnt 0x2
	s_delay_alu instid0(VALU_DEP_1) | instskip(SKIP_1) | instid1(VALU_DEP_1)
	v_fma_mix_f32 v19, v24, v23, v19 op_sel:[1,0,0] op_sel_hi:[1,1,0]
	s_wait_loadcnt_dscnt 0x101
	v_fma_mix_f32 v19, v25, v26, v19 op_sel_hi:[1,1,0]
	s_wait_loadcnt_dscnt 0x0
	s_delay_alu instid0(VALU_DEP_1)
	v_fma_mix_f32 v22, v28, v27, v19 op_sel_hi:[1,1,0]
	s_cbranch_scc1 .LBB76_16
	s_branch .LBB76_11
.LBB76_17:                              ;   in Loop: Header=BB76_9 Depth=1
	s_or_b32 exec_lo, exec_lo, s12
.LBB76_18:                              ;   in Loop: Header=BB76_9 Depth=1
	s_delay_alu instid0(SALU_CYCLE_1) | instskip(NEXT) | instid1(SALU_CYCLE_1)
	s_or_b32 exec_lo, exec_lo, s9
	s_mov_b32 s1, exec_lo
	v_cmpx_gt_i32_e64 s22, v12
	s_cbranch_execz .LBB76_8
; %bb.19:                               ;   in Loop: Header=BB76_9 Depth=1
	s_and_b32 vcc_lo, exec_lo, s3
	s_cbranch_vccz .LBB76_25
; %bb.20:                               ;   in Loop: Header=BB76_9 Depth=1
	s_and_b32 vcc_lo, exec_lo, s16
	s_mov_b32 s9, -1
	s_cbranch_vccz .LBB76_22
; %bb.21:                               ;   in Loop: Header=BB76_9 Depth=1
	v_lshl_add_u64 v[14:15], v[12:13], 2, v[10:11]
	v_mul_f32_e32 v17, s2, v22
	s_mov_b32 s9, 0
	global_load_b32 v16, v[14:15], off
	s_wait_loadcnt 0x0
	v_fmac_f32_e32 v17, s24, v16
	global_store_b32 v[14:15], v17, off
.LBB76_22:                              ;   in Loop: Header=BB76_9 Depth=1
	s_and_not1_b32 vcc_lo, exec_lo, s9
	s_cbranch_vccnz .LBB76_24
; %bb.23:                               ;   in Loop: Header=BB76_9 Depth=1
	s_wait_xcnt 0x0
	v_mul_u64_e32 v[14:15], s[14:15], v[12:13]
	v_mul_f32_e32 v17, s2, v22
	s_delay_alu instid0(VALU_DEP_2)
	v_lshl_add_u64 v[14:15], v[14:15], 2, v[2:3]
	global_load_b32 v16, v[14:15], off
	s_wait_loadcnt 0x0
	v_fmac_f32_e32 v17, s24, v16
	global_store_b32 v[14:15], v17, off
.LBB76_24:                              ;   in Loop: Header=BB76_9 Depth=1
	s_cbranch_execnz .LBB76_8
	s_branch .LBB76_26
.LBB76_25:                              ;   in Loop: Header=BB76_9 Depth=1
.LBB76_26:                              ;   in Loop: Header=BB76_9 Depth=1
	s_wait_xcnt 0x0
	v_mul_f32_e32 v14, s2, v22
	s_and_b32 vcc_lo, exec_lo, s16
	s_mov_b32 s9, -1
	s_cbranch_vccz .LBB76_28
; %bb.27:                               ;   in Loop: Header=BB76_9 Depth=1
	v_lshl_add_u64 v[16:17], v[12:13], 2, v[10:11]
	s_mov_b32 s9, 0
	global_store_b32 v[16:17], v14, off
.LBB76_28:                              ;   in Loop: Header=BB76_9 Depth=1
	s_and_not1_b32 vcc_lo, exec_lo, s9
	s_cbranch_vccnz .LBB76_8
; %bb.29:                               ;   in Loop: Header=BB76_9 Depth=1
	v_mul_u64_e32 v[12:13], s[14:15], v[12:13]
	s_delay_alu instid0(VALU_DEP_1)
	v_lshl_add_u64 v[12:13], v[12:13], 2, v[2:3]
	global_store_b32 v[12:13], v14, off
	s_branch .LBB76_8
.LBB76_30:
	s_endpgm
	.section	.rodata,"a",@progbits
	.p2align	6, 0x0
	.amdhsa_kernel _ZN9rocsparseL29bsrmmnt_small_blockdim_kernelILj64ELj64ELj2EliDF16_DF16_ffEEv20rocsparse_direction_T3_S2_llNS_24const_host_device_scalarIT7_EEPKT2_PKS2_PKT4_PKT5_llS5_PT6_ll16rocsparse_order_21rocsparse_index_base_b
		.amdhsa_group_segment_fixed_size 640
		.amdhsa_private_segment_fixed_size 0
		.amdhsa_kernarg_size 392
		.amdhsa_user_sgpr_count 2
		.amdhsa_user_sgpr_dispatch_ptr 0
		.amdhsa_user_sgpr_queue_ptr 0
		.amdhsa_user_sgpr_kernarg_segment_ptr 1
		.amdhsa_user_sgpr_dispatch_id 0
		.amdhsa_user_sgpr_kernarg_preload_length 0
		.amdhsa_user_sgpr_kernarg_preload_offset 0
		.amdhsa_user_sgpr_private_segment_size 0
		.amdhsa_wavefront_size32 1
		.amdhsa_uses_dynamic_stack 0
		.amdhsa_enable_private_segment 0
		.amdhsa_system_sgpr_workgroup_id_x 1
		.amdhsa_system_sgpr_workgroup_id_y 0
		.amdhsa_system_sgpr_workgroup_id_z 0
		.amdhsa_system_sgpr_workgroup_info 0
		.amdhsa_system_vgpr_workitem_id 0
		.amdhsa_next_free_vgpr 32
		.amdhsa_next_free_sgpr 26
		.amdhsa_named_barrier_count 0
		.amdhsa_reserve_vcc 1
		.amdhsa_float_round_mode_32 0
		.amdhsa_float_round_mode_16_64 0
		.amdhsa_float_denorm_mode_32 3
		.amdhsa_float_denorm_mode_16_64 3
		.amdhsa_fp16_overflow 0
		.amdhsa_memory_ordered 1
		.amdhsa_forward_progress 1
		.amdhsa_inst_pref_size 11
		.amdhsa_round_robin_scheduling 0
		.amdhsa_exception_fp_ieee_invalid_op 0
		.amdhsa_exception_fp_denorm_src 0
		.amdhsa_exception_fp_ieee_div_zero 0
		.amdhsa_exception_fp_ieee_overflow 0
		.amdhsa_exception_fp_ieee_underflow 0
		.amdhsa_exception_fp_ieee_inexact 0
		.amdhsa_exception_int_div_zero 0
	.end_amdhsa_kernel
	.section	.text._ZN9rocsparseL29bsrmmnt_small_blockdim_kernelILj64ELj64ELj2EliDF16_DF16_ffEEv20rocsparse_direction_T3_S2_llNS_24const_host_device_scalarIT7_EEPKT2_PKS2_PKT4_PKT5_llS5_PT6_ll16rocsparse_order_21rocsparse_index_base_b,"axG",@progbits,_ZN9rocsparseL29bsrmmnt_small_blockdim_kernelILj64ELj64ELj2EliDF16_DF16_ffEEv20rocsparse_direction_T3_S2_llNS_24const_host_device_scalarIT7_EEPKT2_PKS2_PKT4_PKT5_llS5_PT6_ll16rocsparse_order_21rocsparse_index_base_b,comdat
.Lfunc_end76:
	.size	_ZN9rocsparseL29bsrmmnt_small_blockdim_kernelILj64ELj64ELj2EliDF16_DF16_ffEEv20rocsparse_direction_T3_S2_llNS_24const_host_device_scalarIT7_EEPKT2_PKS2_PKT4_PKT5_llS5_PT6_ll16rocsparse_order_21rocsparse_index_base_b, .Lfunc_end76-_ZN9rocsparseL29bsrmmnt_small_blockdim_kernelILj64ELj64ELj2EliDF16_DF16_ffEEv20rocsparse_direction_T3_S2_llNS_24const_host_device_scalarIT7_EEPKT2_PKS2_PKT4_PKT5_llS5_PT6_ll16rocsparse_order_21rocsparse_index_base_b
                                        ; -- End function
	.set _ZN9rocsparseL29bsrmmnt_small_blockdim_kernelILj64ELj64ELj2EliDF16_DF16_ffEEv20rocsparse_direction_T3_S2_llNS_24const_host_device_scalarIT7_EEPKT2_PKS2_PKT4_PKT5_llS5_PT6_ll16rocsparse_order_21rocsparse_index_base_b.num_vgpr, 32
	.set _ZN9rocsparseL29bsrmmnt_small_blockdim_kernelILj64ELj64ELj2EliDF16_DF16_ffEEv20rocsparse_direction_T3_S2_llNS_24const_host_device_scalarIT7_EEPKT2_PKS2_PKT4_PKT5_llS5_PT6_ll16rocsparse_order_21rocsparse_index_base_b.num_agpr, 0
	.set _ZN9rocsparseL29bsrmmnt_small_blockdim_kernelILj64ELj64ELj2EliDF16_DF16_ffEEv20rocsparse_direction_T3_S2_llNS_24const_host_device_scalarIT7_EEPKT2_PKS2_PKT4_PKT5_llS5_PT6_ll16rocsparse_order_21rocsparse_index_base_b.numbered_sgpr, 26
	.set _ZN9rocsparseL29bsrmmnt_small_blockdim_kernelILj64ELj64ELj2EliDF16_DF16_ffEEv20rocsparse_direction_T3_S2_llNS_24const_host_device_scalarIT7_EEPKT2_PKS2_PKT4_PKT5_llS5_PT6_ll16rocsparse_order_21rocsparse_index_base_b.num_named_barrier, 0
	.set _ZN9rocsparseL29bsrmmnt_small_blockdim_kernelILj64ELj64ELj2EliDF16_DF16_ffEEv20rocsparse_direction_T3_S2_llNS_24const_host_device_scalarIT7_EEPKT2_PKS2_PKT4_PKT5_llS5_PT6_ll16rocsparse_order_21rocsparse_index_base_b.private_seg_size, 0
	.set _ZN9rocsparseL29bsrmmnt_small_blockdim_kernelILj64ELj64ELj2EliDF16_DF16_ffEEv20rocsparse_direction_T3_S2_llNS_24const_host_device_scalarIT7_EEPKT2_PKS2_PKT4_PKT5_llS5_PT6_ll16rocsparse_order_21rocsparse_index_base_b.uses_vcc, 1
	.set _ZN9rocsparseL29bsrmmnt_small_blockdim_kernelILj64ELj64ELj2EliDF16_DF16_ffEEv20rocsparse_direction_T3_S2_llNS_24const_host_device_scalarIT7_EEPKT2_PKS2_PKT4_PKT5_llS5_PT6_ll16rocsparse_order_21rocsparse_index_base_b.uses_flat_scratch, 0
	.set _ZN9rocsparseL29bsrmmnt_small_blockdim_kernelILj64ELj64ELj2EliDF16_DF16_ffEEv20rocsparse_direction_T3_S2_llNS_24const_host_device_scalarIT7_EEPKT2_PKS2_PKT4_PKT5_llS5_PT6_ll16rocsparse_order_21rocsparse_index_base_b.has_dyn_sized_stack, 0
	.set _ZN9rocsparseL29bsrmmnt_small_blockdim_kernelILj64ELj64ELj2EliDF16_DF16_ffEEv20rocsparse_direction_T3_S2_llNS_24const_host_device_scalarIT7_EEPKT2_PKS2_PKT4_PKT5_llS5_PT6_ll16rocsparse_order_21rocsparse_index_base_b.has_recursion, 0
	.set _ZN9rocsparseL29bsrmmnt_small_blockdim_kernelILj64ELj64ELj2EliDF16_DF16_ffEEv20rocsparse_direction_T3_S2_llNS_24const_host_device_scalarIT7_EEPKT2_PKS2_PKT4_PKT5_llS5_PT6_ll16rocsparse_order_21rocsparse_index_base_b.has_indirect_call, 0
	.section	.AMDGPU.csdata,"",@progbits
; Kernel info:
; codeLenInByte = 1316
; TotalNumSgprs: 28
; NumVgprs: 32
; ScratchSize: 0
; MemoryBound: 0
; FloatMode: 240
; IeeeMode: 1
; LDSByteSize: 640 bytes/workgroup (compile time only)
; SGPRBlocks: 0
; VGPRBlocks: 1
; NumSGPRsForWavesPerEU: 28
; NumVGPRsForWavesPerEU: 32
; NamedBarCnt: 0
; Occupancy: 16
; WaveLimiterHint : 0
; COMPUTE_PGM_RSRC2:SCRATCH_EN: 0
; COMPUTE_PGM_RSRC2:USER_SGPR: 2
; COMPUTE_PGM_RSRC2:TRAP_HANDLER: 0
; COMPUTE_PGM_RSRC2:TGID_X_EN: 1
; COMPUTE_PGM_RSRC2:TGID_Y_EN: 0
; COMPUTE_PGM_RSRC2:TGID_Z_EN: 0
; COMPUTE_PGM_RSRC2:TIDIG_COMP_CNT: 0
	.section	.text._ZN9rocsparseL29bsrmmnt_small_blockdim_kernelILj64ELj8ELj2EllDF16_DF16_ffEEv20rocsparse_direction_T3_S2_llNS_24const_host_device_scalarIT7_EEPKT2_PKS2_PKT4_PKT5_llS5_PT6_ll16rocsparse_order_21rocsparse_index_base_b,"axG",@progbits,_ZN9rocsparseL29bsrmmnt_small_blockdim_kernelILj64ELj8ELj2EllDF16_DF16_ffEEv20rocsparse_direction_T3_S2_llNS_24const_host_device_scalarIT7_EEPKT2_PKS2_PKT4_PKT5_llS5_PT6_ll16rocsparse_order_21rocsparse_index_base_b,comdat
	.globl	_ZN9rocsparseL29bsrmmnt_small_blockdim_kernelILj64ELj8ELj2EllDF16_DF16_ffEEv20rocsparse_direction_T3_S2_llNS_24const_host_device_scalarIT7_EEPKT2_PKS2_PKT4_PKT5_llS5_PT6_ll16rocsparse_order_21rocsparse_index_base_b ; -- Begin function _ZN9rocsparseL29bsrmmnt_small_blockdim_kernelILj64ELj8ELj2EllDF16_DF16_ffEEv20rocsparse_direction_T3_S2_llNS_24const_host_device_scalarIT7_EEPKT2_PKS2_PKT4_PKT5_llS5_PT6_ll16rocsparse_order_21rocsparse_index_base_b
	.p2align	8
	.type	_ZN9rocsparseL29bsrmmnt_small_blockdim_kernelILj64ELj8ELj2EllDF16_DF16_ffEEv20rocsparse_direction_T3_S2_llNS_24const_host_device_scalarIT7_EEPKT2_PKS2_PKT4_PKT5_llS5_PT6_ll16rocsparse_order_21rocsparse_index_base_b,@function
_ZN9rocsparseL29bsrmmnt_small_blockdim_kernelILj64ELj8ELj2EllDF16_DF16_ffEEv20rocsparse_direction_T3_S2_llNS_24const_host_device_scalarIT7_EEPKT2_PKS2_PKT4_PKT5_llS5_PT6_ll16rocsparse_order_21rocsparse_index_base_b: ; @_ZN9rocsparseL29bsrmmnt_small_blockdim_kernelILj64ELj8ELj2EllDF16_DF16_ffEEv20rocsparse_direction_T3_S2_llNS_24const_host_device_scalarIT7_EEPKT2_PKS2_PKT4_PKT5_llS5_PT6_ll16rocsparse_order_21rocsparse_index_base_b
; %bb.0:
	s_clause 0x2
	s_load_b96 s[20:22], s[0:1], 0x80
	s_load_b64 s[2:3], s[0:1], 0x28
	s_load_b64 s[24:25], s[0:1], 0x60
	s_wait_kmcnt 0x0
	s_bitcmp1_b32 s22, 0
	s_cselect_b32 s4, -1, 0
	s_delay_alu instid0(SALU_CYCLE_1)
	s_and_b32 vcc_lo, exec_lo, s4
	s_xor_b32 s4, s4, -1
	s_cbranch_vccnz .LBB77_2
; %bb.1:
	s_load_b32 s2, s[2:3], 0x0
.LBB77_2:
	s_and_not1_b32 vcc_lo, exec_lo, s4
	s_cbranch_vccnz .LBB77_4
; %bb.3:
	s_load_b32 s24, s[24:25], 0x0
.LBB77_4:
	s_wait_kmcnt 0x0
	s_cmp_eq_f32 s2, 0
	s_cselect_b32 s3, -1, 0
	s_cmp_eq_f32 s24, 1.0
	s_cselect_b32 s4, -1, 0
	s_delay_alu instid0(SALU_CYCLE_1) | instskip(NEXT) | instid1(SALU_CYCLE_1)
	s_and_b32 s3, s3, s4
	s_and_b32 vcc_lo, exec_lo, s3
	s_cbranch_vccnz .LBB77_30
; %bb.5:
	s_clause 0x1
	s_load_b32 s3, s[0:1], 0x9c
	s_load_b128 s[12:15], s[0:1], 0x8
	s_bfe_u32 s4, ttmp6, 0x4000c
	s_and_b32 s5, ttmp6, 15
	s_add_co_i32 s4, s4, 1
	s_getreg_b32 s6, hwreg(HW_REG_IB_STS2, 6, 4)
	s_mul_i32 s4, ttmp9, s4
	s_delay_alu instid0(SALU_CYCLE_1) | instskip(SKIP_4) | instid1(SALU_CYCLE_1)
	s_add_co_i32 s5, s5, s4
	s_wait_kmcnt 0x0
	s_and_b32 s3, s3, 0xffff
	s_cmp_eq_u32 s6, 0
	s_cselect_b32 s4, ttmp9, s5
	v_mad_u32 v1, s4, s3, v0
	v_mov_b32_e32 v3, 0
	s_mov_b32 s3, exec_lo
	s_delay_alu instid0(VALU_DEP_2) | instskip(NEXT) | instid1(VALU_DEP_1)
	v_lshrrev_b32_e32 v2, 4, v1
	v_cmpx_gt_i64_e64 s[12:13], v[2:3]
	s_cbranch_execz .LBB77_30
; %bb.6:
	v_cmp_lt_i64_e64 s3, s[14:15], 1
	s_and_b32 vcc_lo, exec_lo, s3
	s_cbranch_vccnz .LBB77_30
; %bb.7:
	s_load_b256 s[4:11], s[0:1], 0x30
	v_dual_lshlrev_b32 v2, 3, v2 :: v_dual_lshrrev_b32 v4, 3, v1
	s_load_b128 s[16:19], s[0:1], 0x68
	v_dual_mov_b32 v5, 0 :: v_dual_lshrrev_b32 v1, 2, v1
	s_cmp_neq_f32 s24, 0
	s_mov_b32 s13, 0
	s_mov_b32 s12, s21
	s_delay_alu instid0(VALU_DEP_1)
	v_dual_mov_b32 v9, v5 :: v_dual_bitop2_b32 v8, 2, v1 bitop3:0x40
	s_cselect_b32 s3, -1, 0
	s_cmp_lg_u32 s20, 1
	s_cselect_b32 s22, -1, 0
	s_wait_kmcnt 0x0
	global_load_b128 v[12:15], v2, s[4:5]
	s_wait_xcnt 0x0
	s_load_b64 s[4:5], s[0:1], 0x50
	v_add_nc_u64_e32 v[10:11], s[8:9], v[8:9]
	v_mul_u64_e32 v[6:7], s[18:19], v[4:5]
	s_wait_xcnt 0x0
	s_load_b32 s0, s[0:1], 0x0
	v_dual_lshrrev_b32 v0, 3, v0 :: v_dual_bitop2_b32 v2, 7, v0 bitop3:0x40
	v_mov_b32_e32 v3, v5
	s_mov_b32 s9, s13
	v_add_nc_u64_e32 v[8:9], v[10:11], v[8:9]
	s_delay_alu instid0(VALU_DEP_3) | instskip(SKIP_2) | instid1(VALU_DEP_2)
	v_mul_u32_u24_e32 v16, 6, v2
	v_lshlrev_b32_e32 v22, 6, v0
	v_mul_u32_u24_e32 v0, 48, v0
	v_lshl_or_b32 v23, v2, 3, v22
	s_delay_alu instid0(VALU_DEP_2) | instskip(NEXT) | instid1(VALU_DEP_1)
	v_or_b32_e32 v24, 0x200, v0
	v_add_nc_u32_e32 v25, v24, v16
	s_wait_kmcnt 0x0
	s_cmp_eq_u32 s0, 0
	s_cselect_b32 vcc_lo, -1, 0
	v_lshlrev_b32_e32 v4, 2, v4
	s_and_b32 s1, vcc_lo, exec_lo
	s_cselect_b32 s8, 2, 4
	s_lshl_b64 s[20:21], s[4:5], 1
	s_delay_alu instid0(VALU_DEP_1)
	v_add_nc_u64_e32 v[0:1], s[16:17], v[4:5]
	v_dual_cndmask_b32 v5, v11, v9 :: v_dual_cndmask_b32 v4, v10, v8
	v_lshl_add_u64 v[6:7], v[6:7], 2, s[16:17]
	s_mov_b64 s[16:17], 0
	s_wait_loadcnt 0x0
	v_sub_nc_u64_e64 v[8:9], v[12:13], s[12:13]
	v_sub_nc_u64_e64 v[10:11], v[14:15], s[12:13]
	v_cmp_lt_i64_e64 s0, v[12:13], v[14:15]
	s_branch .LBB77_9
.LBB77_8:                               ;   in Loop: Header=BB77_9 Depth=1
	s_wait_xcnt 0x0
	s_or_b32 exec_lo, exec_lo, s1
	s_add_nc_u64 s[16:17], s[16:17], 8
	s_delay_alu instid0(SALU_CYCLE_1)
	v_cmp_lt_i64_e64 s1, s[16:17], s[14:15]
	s_and_b32 vcc_lo, exec_lo, s1
	s_cbranch_vccz .LBB77_30
.LBB77_9:                               ; =>This Loop Header: Depth=1
                                        ;     Child Loop BB77_12 Depth 2
                                        ;       Child Loop BB77_16 Depth 3
	v_dual_mov_b32 v13, s17 :: v_dual_bitop2_b32 v12, s16, v2 bitop3:0x54
	v_mov_b32_e32 v26, 0
	s_delay_alu instid0(VALU_DEP_3)
	s_and_saveexec_b32 s23, s0
	s_cbranch_execz .LBB77_18
; %bb.10:                               ;   in Loop: Header=BB77_9 Depth=1
	v_mov_b64_e32 v[16:17], v[8:9]
	v_lshl_add_u64 v[14:15], v[12:13], 1, s[10:11]
	v_mov_b32_e32 v26, 0
	s_mov_b32 s25, 0
	v_cmp_gt_i64_e32 vcc_lo, s[14:15], v[12:13]
	s_branch .LBB77_12
.LBB77_11:                              ;   in Loop: Header=BB77_12 Depth=2
	s_or_b32 exec_lo, exec_lo, s1
	v_add_nc_u64_e32 v[16:17], 8, v[16:17]
	s_delay_alu instid0(VALU_DEP_1) | instskip(SKIP_1) | instid1(SALU_CYCLE_1)
	v_cmp_ge_i64_e64 s1, v[16:17], v[10:11]
	s_or_b32 s25, s1, s25
	s_and_not1_b32 exec_lo, exec_lo, s25
	s_cbranch_execz .LBB77_17
.LBB77_12:                              ;   Parent Loop BB77_9 Depth=1
                                        ; =>  This Loop Header: Depth=2
                                        ;       Child Loop BB77_16 Depth 3
	s_delay_alu instid0(VALU_DEP_4) | instskip(SKIP_3) | instid1(VALU_DEP_3)
	v_add_nc_u64_e32 v[20:21], v[16:17], v[2:3]
	v_mov_b64_e32 v[18:19], 0
	v_dual_mov_b32 v27, 0 :: v_dual_mov_b32 v28, 0
	s_mov_b32 s26, exec_lo
	v_cmpx_lt_i64_e64 v[20:21], v[10:11]
	s_cbranch_execz .LBB77_14
; %bb.13:                               ;   in Loop: Header=BB77_12 Depth=2
	v_lshlrev_b64_e32 v[18:19], 3, v[20:21]
	s_delay_alu instid0(VALU_DEP_1)
	v_add_nc_u64_e32 v[20:21], s[6:7], v[18:19]
	v_add_nc_u64_e32 v[18:19], v[4:5], v[18:19]
	global_load_b64 v[20:21], v[20:21], off
	v_add_nc_u64_e32 v[30:31], s[8:9], v[18:19]
	s_clause 0x1
	global_load_u16 v27, v[18:19], off
	global_load_u16 v28, v[30:31], off
	s_wait_loadcnt 0x2
	s_wait_xcnt 0x1
	v_sub_nc_u64_e64 v[18:19], v[20:21], s[12:13]
	s_delay_alu instid0(VALU_DEP_1)
	v_lshlrev_b64_e32 v[18:19], 1, v[18:19]
.LBB77_14:                              ;   in Loop: Header=BB77_12 Depth=2
	s_wait_xcnt 0x0
	s_or_b32 exec_lo, exec_lo, s26
	ds_store_b64 v23, v[18:19]
	s_wait_loadcnt 0x1
	ds_store_b16 v25, v27
	s_wait_loadcnt 0x0
	ds_store_b16 v25, v28 offset:2
	s_wait_dscnt 0x0
	s_barrier_signal -1
	s_barrier_wait -1
	s_and_saveexec_b32 s1, vcc_lo
	s_cbranch_execz .LBB77_11
; %bb.15:                               ;   in Loop: Header=BB77_12 Depth=2
	v_mov_b32_e32 v18, v24
	s_mov_b32 s26, 0
.LBB77_16:                              ;   Parent Loop BB77_9 Depth=1
                                        ;     Parent Loop BB77_12 Depth=2
                                        ; =>    This Inner Loop Header: Depth=3
	s_delay_alu instid0(SALU_CYCLE_1) | instskip(SKIP_1) | instid1(SALU_CYCLE_1)
	v_add_nc_u32_e32 v19, s26, v22
	s_add_co_i32 s26, s26, 16
	s_cmp_lg_u32 s26, 64
	ds_load_b128 v[28:31], v19
	s_wait_dscnt 0x0
	v_mul_u64_e32 v[20:21], s[4:5], v[28:29]
	v_mul_u64_e32 v[28:29], s[4:5], v[30:31]
	s_delay_alu instid0(VALU_DEP_2) | instskip(NEXT) | instid1(VALU_DEP_1)
	v_lshl_add_u64 v[20:21], v[20:21], 1, v[14:15]
	v_add_nc_u64_e32 v[30:31], s[20:21], v[20:21]
	s_clause 0x1
	global_load_u16 v19, v[20:21], off
	global_load_u16 v27, v[30:31], off
	s_wait_xcnt 0x1
	v_lshl_add_u64 v[20:21], v[28:29], 1, v[14:15]
	s_delay_alu instid0(VALU_DEP_1)
	v_add_nc_u64_e32 v[28:29], s[20:21], v[20:21]
	s_clause 0x1
	global_load_u16 v30, v[20:21], off
	global_load_u16 v31, v[28:29], off
	s_wait_xcnt 0x1
	ds_load_b32 v20, v18
	ds_load_u16 v21, v18 offset:6
	s_wait_xcnt 0x0
	ds_load_u16 v28, v18 offset:8
	v_add_nc_u32_e32 v18, 12, v18
	s_wait_loadcnt_dscnt 0x302
	v_fma_mix_f32 v19, v20, v19, v26 op_sel_hi:[1,1,0]
	s_wait_loadcnt 0x2
	s_delay_alu instid0(VALU_DEP_1) | instskip(SKIP_1) | instid1(VALU_DEP_1)
	v_fma_mix_f32 v19, v20, v27, v19 op_sel:[1,0,0] op_sel_hi:[1,1,0]
	s_wait_loadcnt_dscnt 0x101
	v_fma_mix_f32 v19, v21, v30, v19 op_sel_hi:[1,1,0]
	s_wait_loadcnt_dscnt 0x0
	s_delay_alu instid0(VALU_DEP_1)
	v_fma_mix_f32 v26, v28, v31, v19 op_sel_hi:[1,1,0]
	s_cbranch_scc1 .LBB77_16
	s_branch .LBB77_11
.LBB77_17:                              ;   in Loop: Header=BB77_9 Depth=1
	s_or_b32 exec_lo, exec_lo, s25
.LBB77_18:                              ;   in Loop: Header=BB77_9 Depth=1
	s_delay_alu instid0(SALU_CYCLE_1) | instskip(NEXT) | instid1(SALU_CYCLE_1)
	s_or_b32 exec_lo, exec_lo, s23
	s_mov_b32 s1, exec_lo
	v_cmpx_gt_i64_e64 s[14:15], v[12:13]
	s_cbranch_execz .LBB77_8
; %bb.19:                               ;   in Loop: Header=BB77_9 Depth=1
	s_and_b32 vcc_lo, exec_lo, s3
	s_cbranch_vccz .LBB77_25
; %bb.20:                               ;   in Loop: Header=BB77_9 Depth=1
	s_and_b32 vcc_lo, exec_lo, s22
	s_mov_b32 s23, -1
	s_cbranch_vccz .LBB77_22
; %bb.21:                               ;   in Loop: Header=BB77_9 Depth=1
	v_lshl_add_u64 v[14:15], v[12:13], 2, v[6:7]
	v_mul_f32_e32 v17, s2, v26
	s_mov_b32 s23, 0
	global_load_b32 v16, v[14:15], off
	s_wait_loadcnt 0x0
	v_fmac_f32_e32 v17, s24, v16
	global_store_b32 v[14:15], v17, off
.LBB77_22:                              ;   in Loop: Header=BB77_9 Depth=1
	s_and_not1_b32 vcc_lo, exec_lo, s23
	s_cbranch_vccnz .LBB77_24
; %bb.23:                               ;   in Loop: Header=BB77_9 Depth=1
	s_wait_xcnt 0x0
	v_mul_u64_e32 v[14:15], s[18:19], v[12:13]
	v_mul_f32_e32 v17, s2, v26
	s_delay_alu instid0(VALU_DEP_2)
	v_lshl_add_u64 v[14:15], v[14:15], 2, v[0:1]
	global_load_b32 v16, v[14:15], off
	s_wait_loadcnt 0x0
	v_fmac_f32_e32 v17, s24, v16
	global_store_b32 v[14:15], v17, off
.LBB77_24:                              ;   in Loop: Header=BB77_9 Depth=1
	s_cbranch_execnz .LBB77_8
	s_branch .LBB77_26
.LBB77_25:                              ;   in Loop: Header=BB77_9 Depth=1
.LBB77_26:                              ;   in Loop: Header=BB77_9 Depth=1
	s_wait_xcnt 0x0
	v_mul_f32_e32 v14, s2, v26
	s_and_b32 vcc_lo, exec_lo, s22
	s_mov_b32 s23, -1
	s_cbranch_vccz .LBB77_28
; %bb.27:                               ;   in Loop: Header=BB77_9 Depth=1
	v_lshl_add_u64 v[16:17], v[12:13], 2, v[6:7]
	s_mov_b32 s23, 0
	global_store_b32 v[16:17], v14, off
.LBB77_28:                              ;   in Loop: Header=BB77_9 Depth=1
	s_and_not1_b32 vcc_lo, exec_lo, s23
	s_cbranch_vccnz .LBB77_8
; %bb.29:                               ;   in Loop: Header=BB77_9 Depth=1
	v_mul_u64_e32 v[12:13], s[18:19], v[12:13]
	s_delay_alu instid0(VALU_DEP_1)
	v_lshl_add_u64 v[12:13], v[12:13], 2, v[0:1]
	global_store_b32 v[12:13], v14, off
	s_branch .LBB77_8
.LBB77_30:
	s_endpgm
	.section	.rodata,"a",@progbits
	.p2align	6, 0x0
	.amdhsa_kernel _ZN9rocsparseL29bsrmmnt_small_blockdim_kernelILj64ELj8ELj2EllDF16_DF16_ffEEv20rocsparse_direction_T3_S2_llNS_24const_host_device_scalarIT7_EEPKT2_PKS2_PKT4_PKT5_llS5_PT6_ll16rocsparse_order_21rocsparse_index_base_b
		.amdhsa_group_segment_fixed_size 896
		.amdhsa_private_segment_fixed_size 0
		.amdhsa_kernarg_size 400
		.amdhsa_user_sgpr_count 2
		.amdhsa_user_sgpr_dispatch_ptr 0
		.amdhsa_user_sgpr_queue_ptr 0
		.amdhsa_user_sgpr_kernarg_segment_ptr 1
		.amdhsa_user_sgpr_dispatch_id 0
		.amdhsa_user_sgpr_kernarg_preload_length 0
		.amdhsa_user_sgpr_kernarg_preload_offset 0
		.amdhsa_user_sgpr_private_segment_size 0
		.amdhsa_wavefront_size32 1
		.amdhsa_uses_dynamic_stack 0
		.amdhsa_enable_private_segment 0
		.amdhsa_system_sgpr_workgroup_id_x 1
		.amdhsa_system_sgpr_workgroup_id_y 0
		.amdhsa_system_sgpr_workgroup_id_z 0
		.amdhsa_system_sgpr_workgroup_info 0
		.amdhsa_system_vgpr_workitem_id 0
		.amdhsa_next_free_vgpr 32
		.amdhsa_next_free_sgpr 27
		.amdhsa_named_barrier_count 0
		.amdhsa_reserve_vcc 1
		.amdhsa_float_round_mode_32 0
		.amdhsa_float_round_mode_16_64 0
		.amdhsa_float_denorm_mode_32 3
		.amdhsa_float_denorm_mode_16_64 3
		.amdhsa_fp16_overflow 0
		.amdhsa_memory_ordered 1
		.amdhsa_forward_progress 1
		.amdhsa_inst_pref_size 11
		.amdhsa_round_robin_scheduling 0
		.amdhsa_exception_fp_ieee_invalid_op 0
		.amdhsa_exception_fp_denorm_src 0
		.amdhsa_exception_fp_ieee_div_zero 0
		.amdhsa_exception_fp_ieee_overflow 0
		.amdhsa_exception_fp_ieee_underflow 0
		.amdhsa_exception_fp_ieee_inexact 0
		.amdhsa_exception_int_div_zero 0
	.end_amdhsa_kernel
	.section	.text._ZN9rocsparseL29bsrmmnt_small_blockdim_kernelILj64ELj8ELj2EllDF16_DF16_ffEEv20rocsparse_direction_T3_S2_llNS_24const_host_device_scalarIT7_EEPKT2_PKS2_PKT4_PKT5_llS5_PT6_ll16rocsparse_order_21rocsparse_index_base_b,"axG",@progbits,_ZN9rocsparseL29bsrmmnt_small_blockdim_kernelILj64ELj8ELj2EllDF16_DF16_ffEEv20rocsparse_direction_T3_S2_llNS_24const_host_device_scalarIT7_EEPKT2_PKS2_PKT4_PKT5_llS5_PT6_ll16rocsparse_order_21rocsparse_index_base_b,comdat
.Lfunc_end77:
	.size	_ZN9rocsparseL29bsrmmnt_small_blockdim_kernelILj64ELj8ELj2EllDF16_DF16_ffEEv20rocsparse_direction_T3_S2_llNS_24const_host_device_scalarIT7_EEPKT2_PKS2_PKT4_PKT5_llS5_PT6_ll16rocsparse_order_21rocsparse_index_base_b, .Lfunc_end77-_ZN9rocsparseL29bsrmmnt_small_blockdim_kernelILj64ELj8ELj2EllDF16_DF16_ffEEv20rocsparse_direction_T3_S2_llNS_24const_host_device_scalarIT7_EEPKT2_PKS2_PKT4_PKT5_llS5_PT6_ll16rocsparse_order_21rocsparse_index_base_b
                                        ; -- End function
	.set _ZN9rocsparseL29bsrmmnt_small_blockdim_kernelILj64ELj8ELj2EllDF16_DF16_ffEEv20rocsparse_direction_T3_S2_llNS_24const_host_device_scalarIT7_EEPKT2_PKS2_PKT4_PKT5_llS5_PT6_ll16rocsparse_order_21rocsparse_index_base_b.num_vgpr, 32
	.set _ZN9rocsparseL29bsrmmnt_small_blockdim_kernelILj64ELj8ELj2EllDF16_DF16_ffEEv20rocsparse_direction_T3_S2_llNS_24const_host_device_scalarIT7_EEPKT2_PKS2_PKT4_PKT5_llS5_PT6_ll16rocsparse_order_21rocsparse_index_base_b.num_agpr, 0
	.set _ZN9rocsparseL29bsrmmnt_small_blockdim_kernelILj64ELj8ELj2EllDF16_DF16_ffEEv20rocsparse_direction_T3_S2_llNS_24const_host_device_scalarIT7_EEPKT2_PKS2_PKT4_PKT5_llS5_PT6_ll16rocsparse_order_21rocsparse_index_base_b.numbered_sgpr, 27
	.set _ZN9rocsparseL29bsrmmnt_small_blockdim_kernelILj64ELj8ELj2EllDF16_DF16_ffEEv20rocsparse_direction_T3_S2_llNS_24const_host_device_scalarIT7_EEPKT2_PKS2_PKT4_PKT5_llS5_PT6_ll16rocsparse_order_21rocsparse_index_base_b.num_named_barrier, 0
	.set _ZN9rocsparseL29bsrmmnt_small_blockdim_kernelILj64ELj8ELj2EllDF16_DF16_ffEEv20rocsparse_direction_T3_S2_llNS_24const_host_device_scalarIT7_EEPKT2_PKS2_PKT4_PKT5_llS5_PT6_ll16rocsparse_order_21rocsparse_index_base_b.private_seg_size, 0
	.set _ZN9rocsparseL29bsrmmnt_small_blockdim_kernelILj64ELj8ELj2EllDF16_DF16_ffEEv20rocsparse_direction_T3_S2_llNS_24const_host_device_scalarIT7_EEPKT2_PKS2_PKT4_PKT5_llS5_PT6_ll16rocsparse_order_21rocsparse_index_base_b.uses_vcc, 1
	.set _ZN9rocsparseL29bsrmmnt_small_blockdim_kernelILj64ELj8ELj2EllDF16_DF16_ffEEv20rocsparse_direction_T3_S2_llNS_24const_host_device_scalarIT7_EEPKT2_PKS2_PKT4_PKT5_llS5_PT6_ll16rocsparse_order_21rocsparse_index_base_b.uses_flat_scratch, 0
	.set _ZN9rocsparseL29bsrmmnt_small_blockdim_kernelILj64ELj8ELj2EllDF16_DF16_ffEEv20rocsparse_direction_T3_S2_llNS_24const_host_device_scalarIT7_EEPKT2_PKS2_PKT4_PKT5_llS5_PT6_ll16rocsparse_order_21rocsparse_index_base_b.has_dyn_sized_stack, 0
	.set _ZN9rocsparseL29bsrmmnt_small_blockdim_kernelILj64ELj8ELj2EllDF16_DF16_ffEEv20rocsparse_direction_T3_S2_llNS_24const_host_device_scalarIT7_EEPKT2_PKS2_PKT4_PKT5_llS5_PT6_ll16rocsparse_order_21rocsparse_index_base_b.has_recursion, 0
	.set _ZN9rocsparseL29bsrmmnt_small_blockdim_kernelILj64ELj8ELj2EllDF16_DF16_ffEEv20rocsparse_direction_T3_S2_llNS_24const_host_device_scalarIT7_EEPKT2_PKS2_PKT4_PKT5_llS5_PT6_ll16rocsparse_order_21rocsparse_index_base_b.has_indirect_call, 0
	.section	.AMDGPU.csdata,"",@progbits
; Kernel info:
; codeLenInByte = 1312
; TotalNumSgprs: 29
; NumVgprs: 32
; ScratchSize: 0
; MemoryBound: 0
; FloatMode: 240
; IeeeMode: 1
; LDSByteSize: 896 bytes/workgroup (compile time only)
; SGPRBlocks: 0
; VGPRBlocks: 1
; NumSGPRsForWavesPerEU: 29
; NumVGPRsForWavesPerEU: 32
; NamedBarCnt: 0
; Occupancy: 16
; WaveLimiterHint : 1
; COMPUTE_PGM_RSRC2:SCRATCH_EN: 0
; COMPUTE_PGM_RSRC2:USER_SGPR: 2
; COMPUTE_PGM_RSRC2:TRAP_HANDLER: 0
; COMPUTE_PGM_RSRC2:TGID_X_EN: 1
; COMPUTE_PGM_RSRC2:TGID_Y_EN: 0
; COMPUTE_PGM_RSRC2:TGID_Z_EN: 0
; COMPUTE_PGM_RSRC2:TIDIG_COMP_CNT: 0
	.section	.text._ZN9rocsparseL29bsrmmnt_small_blockdim_kernelILj64ELj16ELj2EllDF16_DF16_ffEEv20rocsparse_direction_T3_S2_llNS_24const_host_device_scalarIT7_EEPKT2_PKS2_PKT4_PKT5_llS5_PT6_ll16rocsparse_order_21rocsparse_index_base_b,"axG",@progbits,_ZN9rocsparseL29bsrmmnt_small_blockdim_kernelILj64ELj16ELj2EllDF16_DF16_ffEEv20rocsparse_direction_T3_S2_llNS_24const_host_device_scalarIT7_EEPKT2_PKS2_PKT4_PKT5_llS5_PT6_ll16rocsparse_order_21rocsparse_index_base_b,comdat
	.globl	_ZN9rocsparseL29bsrmmnt_small_blockdim_kernelILj64ELj16ELj2EllDF16_DF16_ffEEv20rocsparse_direction_T3_S2_llNS_24const_host_device_scalarIT7_EEPKT2_PKS2_PKT4_PKT5_llS5_PT6_ll16rocsparse_order_21rocsparse_index_base_b ; -- Begin function _ZN9rocsparseL29bsrmmnt_small_blockdim_kernelILj64ELj16ELj2EllDF16_DF16_ffEEv20rocsparse_direction_T3_S2_llNS_24const_host_device_scalarIT7_EEPKT2_PKS2_PKT4_PKT5_llS5_PT6_ll16rocsparse_order_21rocsparse_index_base_b
	.p2align	8
	.type	_ZN9rocsparseL29bsrmmnt_small_blockdim_kernelILj64ELj16ELj2EllDF16_DF16_ffEEv20rocsparse_direction_T3_S2_llNS_24const_host_device_scalarIT7_EEPKT2_PKS2_PKT4_PKT5_llS5_PT6_ll16rocsparse_order_21rocsparse_index_base_b,@function
_ZN9rocsparseL29bsrmmnt_small_blockdim_kernelILj64ELj16ELj2EllDF16_DF16_ffEEv20rocsparse_direction_T3_S2_llNS_24const_host_device_scalarIT7_EEPKT2_PKS2_PKT4_PKT5_llS5_PT6_ll16rocsparse_order_21rocsparse_index_base_b: ; @_ZN9rocsparseL29bsrmmnt_small_blockdim_kernelILj64ELj16ELj2EllDF16_DF16_ffEEv20rocsparse_direction_T3_S2_llNS_24const_host_device_scalarIT7_EEPKT2_PKS2_PKT4_PKT5_llS5_PT6_ll16rocsparse_order_21rocsparse_index_base_b
; %bb.0:
	s_clause 0x2
	s_load_b96 s[20:22], s[0:1], 0x80
	s_load_b64 s[2:3], s[0:1], 0x28
	s_load_b64 s[24:25], s[0:1], 0x60
	s_wait_kmcnt 0x0
	s_bitcmp1_b32 s22, 0
	s_cselect_b32 s4, -1, 0
	s_delay_alu instid0(SALU_CYCLE_1)
	s_and_b32 vcc_lo, exec_lo, s4
	s_xor_b32 s4, s4, -1
	s_cbranch_vccnz .LBB78_2
; %bb.1:
	s_load_b32 s2, s[2:3], 0x0
.LBB78_2:
	s_and_not1_b32 vcc_lo, exec_lo, s4
	s_cbranch_vccnz .LBB78_4
; %bb.3:
	s_load_b32 s24, s[24:25], 0x0
.LBB78_4:
	s_wait_kmcnt 0x0
	s_cmp_eq_f32 s2, 0
	s_cselect_b32 s3, -1, 0
	s_cmp_eq_f32 s24, 1.0
	s_cselect_b32 s4, -1, 0
	s_delay_alu instid0(SALU_CYCLE_1) | instskip(NEXT) | instid1(SALU_CYCLE_1)
	s_and_b32 s3, s3, s4
	s_and_b32 vcc_lo, exec_lo, s3
	s_cbranch_vccnz .LBB78_30
; %bb.5:
	s_clause 0x1
	s_load_b32 s3, s[0:1], 0x9c
	s_load_b128 s[12:15], s[0:1], 0x8
	s_bfe_u32 s4, ttmp6, 0x4000c
	s_and_b32 s5, ttmp6, 15
	s_add_co_i32 s4, s4, 1
	s_getreg_b32 s6, hwreg(HW_REG_IB_STS2, 6, 4)
	s_mul_i32 s4, ttmp9, s4
	s_delay_alu instid0(SALU_CYCLE_1) | instskip(SKIP_4) | instid1(SALU_CYCLE_1)
	s_add_co_i32 s5, s5, s4
	s_wait_kmcnt 0x0
	s_and_b32 s3, s3, 0xffff
	s_cmp_eq_u32 s6, 0
	s_cselect_b32 s4, ttmp9, s5
	v_mad_u32 v1, s4, s3, v0
	v_mov_b32_e32 v3, 0
	s_mov_b32 s3, exec_lo
	s_delay_alu instid0(VALU_DEP_2) | instskip(NEXT) | instid1(VALU_DEP_1)
	v_lshrrev_b32_e32 v2, 5, v1
	v_cmpx_gt_i64_e64 s[12:13], v[2:3]
	s_cbranch_execz .LBB78_30
; %bb.6:
	v_cmp_lt_i64_e64 s3, s[14:15], 1
	s_and_b32 vcc_lo, exec_lo, s3
	s_cbranch_vccnz .LBB78_30
; %bb.7:
	s_load_b256 s[4:11], s[0:1], 0x30
	v_dual_lshlrev_b32 v2, 3, v2 :: v_dual_lshrrev_b32 v4, 4, v1
	s_load_b128 s[16:19], s[0:1], 0x68
	v_dual_mov_b32 v5, 0 :: v_dual_lshrrev_b32 v1, 3, v1
	s_cmp_neq_f32 s24, 0
	s_mov_b32 s13, 0
	s_mov_b32 s12, s21
	s_delay_alu instid0(VALU_DEP_1)
	v_dual_mov_b32 v9, v5 :: v_dual_bitop2_b32 v8, 2, v1 bitop3:0x40
	s_cselect_b32 s3, -1, 0
	s_cmp_lg_u32 s20, 1
	s_cselect_b32 s22, -1, 0
	s_wait_kmcnt 0x0
	global_load_b128 v[12:15], v2, s[4:5]
	s_wait_xcnt 0x0
	s_load_b64 s[4:5], s[0:1], 0x50
	v_add_nc_u64_e32 v[10:11], s[8:9], v[8:9]
	v_mul_u64_e32 v[6:7], s[18:19], v[4:5]
	s_wait_xcnt 0x0
	s_load_b32 s0, s[0:1], 0x0
	v_dual_lshrrev_b32 v0, 4, v0 :: v_dual_bitop2_b32 v2, 15, v0 bitop3:0x40
	v_mov_b32_e32 v3, v5
	s_mov_b32 s9, s13
	v_add_nc_u64_e32 v[8:9], v[10:11], v[8:9]
	s_delay_alu instid0(VALU_DEP_3) | instskip(SKIP_2) | instid1(VALU_DEP_2)
	v_mul_u32_u24_e32 v16, 6, v2
	v_lshlrev_b32_e32 v22, 7, v0
	v_mul_u32_u24_e32 v0, 0x60, v0
	v_lshl_or_b32 v23, v2, 3, v22
	s_delay_alu instid0(VALU_DEP_2) | instskip(NEXT) | instid1(VALU_DEP_1)
	v_or_b32_e32 v24, 0x200, v0
	v_add_nc_u32_e32 v25, v24, v16
	s_wait_kmcnt 0x0
	s_cmp_eq_u32 s0, 0
	s_cselect_b32 vcc_lo, -1, 0
	v_lshlrev_b32_e32 v4, 2, v4
	s_and_b32 s1, vcc_lo, exec_lo
	s_cselect_b32 s8, 2, 4
	s_lshl_b64 s[20:21], s[4:5], 1
	s_delay_alu instid0(VALU_DEP_1)
	v_add_nc_u64_e32 v[0:1], s[16:17], v[4:5]
	v_dual_cndmask_b32 v5, v11, v9 :: v_dual_cndmask_b32 v4, v10, v8
	v_lshl_add_u64 v[6:7], v[6:7], 2, s[16:17]
	s_mov_b64 s[16:17], 0
	s_wait_loadcnt 0x0
	v_sub_nc_u64_e64 v[8:9], v[12:13], s[12:13]
	v_sub_nc_u64_e64 v[10:11], v[14:15], s[12:13]
	v_cmp_lt_i64_e64 s0, v[12:13], v[14:15]
	s_branch .LBB78_9
.LBB78_8:                               ;   in Loop: Header=BB78_9 Depth=1
	s_wait_xcnt 0x0
	s_or_b32 exec_lo, exec_lo, s1
	s_add_nc_u64 s[16:17], s[16:17], 16
	s_delay_alu instid0(SALU_CYCLE_1)
	v_cmp_lt_i64_e64 s1, s[16:17], s[14:15]
	s_and_b32 vcc_lo, exec_lo, s1
	s_cbranch_vccz .LBB78_30
.LBB78_9:                               ; =>This Loop Header: Depth=1
                                        ;     Child Loop BB78_12 Depth 2
                                        ;       Child Loop BB78_16 Depth 3
	v_dual_mov_b32 v13, s17 :: v_dual_bitop2_b32 v12, s16, v2 bitop3:0x54
	v_mov_b32_e32 v26, 0
	s_delay_alu instid0(VALU_DEP_3)
	s_and_saveexec_b32 s23, s0
	s_cbranch_execz .LBB78_18
; %bb.10:                               ;   in Loop: Header=BB78_9 Depth=1
	v_mov_b64_e32 v[16:17], v[8:9]
	v_lshl_add_u64 v[14:15], v[12:13], 1, s[10:11]
	v_mov_b32_e32 v26, 0
	s_mov_b32 s25, 0
	v_cmp_gt_i64_e32 vcc_lo, s[14:15], v[12:13]
	s_branch .LBB78_12
.LBB78_11:                              ;   in Loop: Header=BB78_12 Depth=2
	s_or_b32 exec_lo, exec_lo, s1
	v_add_nc_u64_e32 v[16:17], 16, v[16:17]
	s_delay_alu instid0(VALU_DEP_1) | instskip(SKIP_1) | instid1(SALU_CYCLE_1)
	v_cmp_ge_i64_e64 s1, v[16:17], v[10:11]
	s_or_b32 s25, s1, s25
	s_and_not1_b32 exec_lo, exec_lo, s25
	s_cbranch_execz .LBB78_17
.LBB78_12:                              ;   Parent Loop BB78_9 Depth=1
                                        ; =>  This Loop Header: Depth=2
                                        ;       Child Loop BB78_16 Depth 3
	s_delay_alu instid0(VALU_DEP_4) | instskip(SKIP_3) | instid1(VALU_DEP_3)
	v_add_nc_u64_e32 v[20:21], v[16:17], v[2:3]
	v_mov_b64_e32 v[18:19], 0
	v_dual_mov_b32 v27, 0 :: v_dual_mov_b32 v28, 0
	s_mov_b32 s26, exec_lo
	v_cmpx_lt_i64_e64 v[20:21], v[10:11]
	s_cbranch_execz .LBB78_14
; %bb.13:                               ;   in Loop: Header=BB78_12 Depth=2
	v_lshlrev_b64_e32 v[18:19], 3, v[20:21]
	s_delay_alu instid0(VALU_DEP_1)
	v_add_nc_u64_e32 v[20:21], s[6:7], v[18:19]
	v_add_nc_u64_e32 v[18:19], v[4:5], v[18:19]
	global_load_b64 v[20:21], v[20:21], off
	v_add_nc_u64_e32 v[30:31], s[8:9], v[18:19]
	s_clause 0x1
	global_load_u16 v27, v[18:19], off
	global_load_u16 v28, v[30:31], off
	s_wait_loadcnt 0x2
	s_wait_xcnt 0x1
	v_sub_nc_u64_e64 v[18:19], v[20:21], s[12:13]
	s_delay_alu instid0(VALU_DEP_1)
	v_lshlrev_b64_e32 v[18:19], 1, v[18:19]
.LBB78_14:                              ;   in Loop: Header=BB78_12 Depth=2
	s_wait_xcnt 0x0
	s_or_b32 exec_lo, exec_lo, s26
	ds_store_b64 v23, v[18:19]
	s_wait_loadcnt 0x1
	ds_store_b16 v25, v27
	s_wait_loadcnt 0x0
	ds_store_b16 v25, v28 offset:2
	s_wait_dscnt 0x0
	s_barrier_signal -1
	s_barrier_wait -1
	s_and_saveexec_b32 s1, vcc_lo
	s_cbranch_execz .LBB78_11
; %bb.15:                               ;   in Loop: Header=BB78_12 Depth=2
	v_mov_b32_e32 v18, v24
	s_mov_b32 s26, 0
.LBB78_16:                              ;   Parent Loop BB78_9 Depth=1
                                        ;     Parent Loop BB78_12 Depth=2
                                        ; =>    This Inner Loop Header: Depth=3
	s_delay_alu instid0(SALU_CYCLE_1) | instskip(SKIP_1) | instid1(SALU_CYCLE_1)
	v_add_nc_u32_e32 v19, s26, v22
	s_add_co_i32 s26, s26, 16
	s_cmp_lg_u32 s26, 0x80
	ds_load_b128 v[28:31], v19
	s_wait_dscnt 0x0
	v_mul_u64_e32 v[20:21], s[4:5], v[28:29]
	v_mul_u64_e32 v[28:29], s[4:5], v[30:31]
	s_delay_alu instid0(VALU_DEP_2) | instskip(NEXT) | instid1(VALU_DEP_1)
	v_lshl_add_u64 v[20:21], v[20:21], 1, v[14:15]
	v_add_nc_u64_e32 v[30:31], s[20:21], v[20:21]
	s_clause 0x1
	global_load_u16 v19, v[20:21], off
	global_load_u16 v27, v[30:31], off
	s_wait_xcnt 0x1
	v_lshl_add_u64 v[20:21], v[28:29], 1, v[14:15]
	s_delay_alu instid0(VALU_DEP_1)
	v_add_nc_u64_e32 v[28:29], s[20:21], v[20:21]
	s_clause 0x1
	global_load_u16 v30, v[20:21], off
	global_load_u16 v31, v[28:29], off
	s_wait_xcnt 0x1
	ds_load_b32 v20, v18
	ds_load_u16 v21, v18 offset:6
	s_wait_xcnt 0x0
	ds_load_u16 v28, v18 offset:8
	v_add_nc_u32_e32 v18, 12, v18
	s_wait_loadcnt_dscnt 0x302
	v_fma_mix_f32 v19, v20, v19, v26 op_sel_hi:[1,1,0]
	s_wait_loadcnt 0x2
	s_delay_alu instid0(VALU_DEP_1) | instskip(SKIP_1) | instid1(VALU_DEP_1)
	v_fma_mix_f32 v19, v20, v27, v19 op_sel:[1,0,0] op_sel_hi:[1,1,0]
	s_wait_loadcnt_dscnt 0x101
	v_fma_mix_f32 v19, v21, v30, v19 op_sel_hi:[1,1,0]
	s_wait_loadcnt_dscnt 0x0
	s_delay_alu instid0(VALU_DEP_1)
	v_fma_mix_f32 v26, v28, v31, v19 op_sel_hi:[1,1,0]
	s_cbranch_scc1 .LBB78_16
	s_branch .LBB78_11
.LBB78_17:                              ;   in Loop: Header=BB78_9 Depth=1
	s_or_b32 exec_lo, exec_lo, s25
.LBB78_18:                              ;   in Loop: Header=BB78_9 Depth=1
	s_delay_alu instid0(SALU_CYCLE_1) | instskip(NEXT) | instid1(SALU_CYCLE_1)
	s_or_b32 exec_lo, exec_lo, s23
	s_mov_b32 s1, exec_lo
	v_cmpx_gt_i64_e64 s[14:15], v[12:13]
	s_cbranch_execz .LBB78_8
; %bb.19:                               ;   in Loop: Header=BB78_9 Depth=1
	s_and_b32 vcc_lo, exec_lo, s3
	s_cbranch_vccz .LBB78_25
; %bb.20:                               ;   in Loop: Header=BB78_9 Depth=1
	s_and_b32 vcc_lo, exec_lo, s22
	s_mov_b32 s23, -1
	s_cbranch_vccz .LBB78_22
; %bb.21:                               ;   in Loop: Header=BB78_9 Depth=1
	v_lshl_add_u64 v[14:15], v[12:13], 2, v[6:7]
	v_mul_f32_e32 v17, s2, v26
	s_mov_b32 s23, 0
	global_load_b32 v16, v[14:15], off
	s_wait_loadcnt 0x0
	v_fmac_f32_e32 v17, s24, v16
	global_store_b32 v[14:15], v17, off
.LBB78_22:                              ;   in Loop: Header=BB78_9 Depth=1
	s_and_not1_b32 vcc_lo, exec_lo, s23
	s_cbranch_vccnz .LBB78_24
; %bb.23:                               ;   in Loop: Header=BB78_9 Depth=1
	s_wait_xcnt 0x0
	v_mul_u64_e32 v[14:15], s[18:19], v[12:13]
	v_mul_f32_e32 v17, s2, v26
	s_delay_alu instid0(VALU_DEP_2)
	v_lshl_add_u64 v[14:15], v[14:15], 2, v[0:1]
	global_load_b32 v16, v[14:15], off
	s_wait_loadcnt 0x0
	v_fmac_f32_e32 v17, s24, v16
	global_store_b32 v[14:15], v17, off
.LBB78_24:                              ;   in Loop: Header=BB78_9 Depth=1
	s_cbranch_execnz .LBB78_8
	s_branch .LBB78_26
.LBB78_25:                              ;   in Loop: Header=BB78_9 Depth=1
.LBB78_26:                              ;   in Loop: Header=BB78_9 Depth=1
	s_wait_xcnt 0x0
	v_mul_f32_e32 v14, s2, v26
	s_and_b32 vcc_lo, exec_lo, s22
	s_mov_b32 s23, -1
	s_cbranch_vccz .LBB78_28
; %bb.27:                               ;   in Loop: Header=BB78_9 Depth=1
	v_lshl_add_u64 v[16:17], v[12:13], 2, v[6:7]
	s_mov_b32 s23, 0
	global_store_b32 v[16:17], v14, off
.LBB78_28:                              ;   in Loop: Header=BB78_9 Depth=1
	s_and_not1_b32 vcc_lo, exec_lo, s23
	s_cbranch_vccnz .LBB78_8
; %bb.29:                               ;   in Loop: Header=BB78_9 Depth=1
	v_mul_u64_e32 v[12:13], s[18:19], v[12:13]
	s_delay_alu instid0(VALU_DEP_1)
	v_lshl_add_u64 v[12:13], v[12:13], 2, v[0:1]
	global_store_b32 v[12:13], v14, off
	s_branch .LBB78_8
.LBB78_30:
	s_endpgm
	.section	.rodata,"a",@progbits
	.p2align	6, 0x0
	.amdhsa_kernel _ZN9rocsparseL29bsrmmnt_small_blockdim_kernelILj64ELj16ELj2EllDF16_DF16_ffEEv20rocsparse_direction_T3_S2_llNS_24const_host_device_scalarIT7_EEPKT2_PKS2_PKT4_PKT5_llS5_PT6_ll16rocsparse_order_21rocsparse_index_base_b
		.amdhsa_group_segment_fixed_size 896
		.amdhsa_private_segment_fixed_size 0
		.amdhsa_kernarg_size 400
		.amdhsa_user_sgpr_count 2
		.amdhsa_user_sgpr_dispatch_ptr 0
		.amdhsa_user_sgpr_queue_ptr 0
		.amdhsa_user_sgpr_kernarg_segment_ptr 1
		.amdhsa_user_sgpr_dispatch_id 0
		.amdhsa_user_sgpr_kernarg_preload_length 0
		.amdhsa_user_sgpr_kernarg_preload_offset 0
		.amdhsa_user_sgpr_private_segment_size 0
		.amdhsa_wavefront_size32 1
		.amdhsa_uses_dynamic_stack 0
		.amdhsa_enable_private_segment 0
		.amdhsa_system_sgpr_workgroup_id_x 1
		.amdhsa_system_sgpr_workgroup_id_y 0
		.amdhsa_system_sgpr_workgroup_id_z 0
		.amdhsa_system_sgpr_workgroup_info 0
		.amdhsa_system_vgpr_workitem_id 0
		.amdhsa_next_free_vgpr 32
		.amdhsa_next_free_sgpr 27
		.amdhsa_named_barrier_count 0
		.amdhsa_reserve_vcc 1
		.amdhsa_float_round_mode_32 0
		.amdhsa_float_round_mode_16_64 0
		.amdhsa_float_denorm_mode_32 3
		.amdhsa_float_denorm_mode_16_64 3
		.amdhsa_fp16_overflow 0
		.amdhsa_memory_ordered 1
		.amdhsa_forward_progress 1
		.amdhsa_inst_pref_size 11
		.amdhsa_round_robin_scheduling 0
		.amdhsa_exception_fp_ieee_invalid_op 0
		.amdhsa_exception_fp_denorm_src 0
		.amdhsa_exception_fp_ieee_div_zero 0
		.amdhsa_exception_fp_ieee_overflow 0
		.amdhsa_exception_fp_ieee_underflow 0
		.amdhsa_exception_fp_ieee_inexact 0
		.amdhsa_exception_int_div_zero 0
	.end_amdhsa_kernel
	.section	.text._ZN9rocsparseL29bsrmmnt_small_blockdim_kernelILj64ELj16ELj2EllDF16_DF16_ffEEv20rocsparse_direction_T3_S2_llNS_24const_host_device_scalarIT7_EEPKT2_PKS2_PKT4_PKT5_llS5_PT6_ll16rocsparse_order_21rocsparse_index_base_b,"axG",@progbits,_ZN9rocsparseL29bsrmmnt_small_blockdim_kernelILj64ELj16ELj2EllDF16_DF16_ffEEv20rocsparse_direction_T3_S2_llNS_24const_host_device_scalarIT7_EEPKT2_PKS2_PKT4_PKT5_llS5_PT6_ll16rocsparse_order_21rocsparse_index_base_b,comdat
.Lfunc_end78:
	.size	_ZN9rocsparseL29bsrmmnt_small_blockdim_kernelILj64ELj16ELj2EllDF16_DF16_ffEEv20rocsparse_direction_T3_S2_llNS_24const_host_device_scalarIT7_EEPKT2_PKS2_PKT4_PKT5_llS5_PT6_ll16rocsparse_order_21rocsparse_index_base_b, .Lfunc_end78-_ZN9rocsparseL29bsrmmnt_small_blockdim_kernelILj64ELj16ELj2EllDF16_DF16_ffEEv20rocsparse_direction_T3_S2_llNS_24const_host_device_scalarIT7_EEPKT2_PKS2_PKT4_PKT5_llS5_PT6_ll16rocsparse_order_21rocsparse_index_base_b
                                        ; -- End function
	.set _ZN9rocsparseL29bsrmmnt_small_blockdim_kernelILj64ELj16ELj2EllDF16_DF16_ffEEv20rocsparse_direction_T3_S2_llNS_24const_host_device_scalarIT7_EEPKT2_PKS2_PKT4_PKT5_llS5_PT6_ll16rocsparse_order_21rocsparse_index_base_b.num_vgpr, 32
	.set _ZN9rocsparseL29bsrmmnt_small_blockdim_kernelILj64ELj16ELj2EllDF16_DF16_ffEEv20rocsparse_direction_T3_S2_llNS_24const_host_device_scalarIT7_EEPKT2_PKS2_PKT4_PKT5_llS5_PT6_ll16rocsparse_order_21rocsparse_index_base_b.num_agpr, 0
	.set _ZN9rocsparseL29bsrmmnt_small_blockdim_kernelILj64ELj16ELj2EllDF16_DF16_ffEEv20rocsparse_direction_T3_S2_llNS_24const_host_device_scalarIT7_EEPKT2_PKS2_PKT4_PKT5_llS5_PT6_ll16rocsparse_order_21rocsparse_index_base_b.numbered_sgpr, 27
	.set _ZN9rocsparseL29bsrmmnt_small_blockdim_kernelILj64ELj16ELj2EllDF16_DF16_ffEEv20rocsparse_direction_T3_S2_llNS_24const_host_device_scalarIT7_EEPKT2_PKS2_PKT4_PKT5_llS5_PT6_ll16rocsparse_order_21rocsparse_index_base_b.num_named_barrier, 0
	.set _ZN9rocsparseL29bsrmmnt_small_blockdim_kernelILj64ELj16ELj2EllDF16_DF16_ffEEv20rocsparse_direction_T3_S2_llNS_24const_host_device_scalarIT7_EEPKT2_PKS2_PKT4_PKT5_llS5_PT6_ll16rocsparse_order_21rocsparse_index_base_b.private_seg_size, 0
	.set _ZN9rocsparseL29bsrmmnt_small_blockdim_kernelILj64ELj16ELj2EllDF16_DF16_ffEEv20rocsparse_direction_T3_S2_llNS_24const_host_device_scalarIT7_EEPKT2_PKS2_PKT4_PKT5_llS5_PT6_ll16rocsparse_order_21rocsparse_index_base_b.uses_vcc, 1
	.set _ZN9rocsparseL29bsrmmnt_small_blockdim_kernelILj64ELj16ELj2EllDF16_DF16_ffEEv20rocsparse_direction_T3_S2_llNS_24const_host_device_scalarIT7_EEPKT2_PKS2_PKT4_PKT5_llS5_PT6_ll16rocsparse_order_21rocsparse_index_base_b.uses_flat_scratch, 0
	.set _ZN9rocsparseL29bsrmmnt_small_blockdim_kernelILj64ELj16ELj2EllDF16_DF16_ffEEv20rocsparse_direction_T3_S2_llNS_24const_host_device_scalarIT7_EEPKT2_PKS2_PKT4_PKT5_llS5_PT6_ll16rocsparse_order_21rocsparse_index_base_b.has_dyn_sized_stack, 0
	.set _ZN9rocsparseL29bsrmmnt_small_blockdim_kernelILj64ELj16ELj2EllDF16_DF16_ffEEv20rocsparse_direction_T3_S2_llNS_24const_host_device_scalarIT7_EEPKT2_PKS2_PKT4_PKT5_llS5_PT6_ll16rocsparse_order_21rocsparse_index_base_b.has_recursion, 0
	.set _ZN9rocsparseL29bsrmmnt_small_blockdim_kernelILj64ELj16ELj2EllDF16_DF16_ffEEv20rocsparse_direction_T3_S2_llNS_24const_host_device_scalarIT7_EEPKT2_PKS2_PKT4_PKT5_llS5_PT6_ll16rocsparse_order_21rocsparse_index_base_b.has_indirect_call, 0
	.section	.AMDGPU.csdata,"",@progbits
; Kernel info:
; codeLenInByte = 1320
; TotalNumSgprs: 29
; NumVgprs: 32
; ScratchSize: 0
; MemoryBound: 0
; FloatMode: 240
; IeeeMode: 1
; LDSByteSize: 896 bytes/workgroup (compile time only)
; SGPRBlocks: 0
; VGPRBlocks: 1
; NumSGPRsForWavesPerEU: 29
; NumVGPRsForWavesPerEU: 32
; NamedBarCnt: 0
; Occupancy: 16
; WaveLimiterHint : 1
; COMPUTE_PGM_RSRC2:SCRATCH_EN: 0
; COMPUTE_PGM_RSRC2:USER_SGPR: 2
; COMPUTE_PGM_RSRC2:TRAP_HANDLER: 0
; COMPUTE_PGM_RSRC2:TGID_X_EN: 1
; COMPUTE_PGM_RSRC2:TGID_Y_EN: 0
; COMPUTE_PGM_RSRC2:TGID_Z_EN: 0
; COMPUTE_PGM_RSRC2:TIDIG_COMP_CNT: 0
	.section	.text._ZN9rocsparseL29bsrmmnt_small_blockdim_kernelILj64ELj32ELj2EllDF16_DF16_ffEEv20rocsparse_direction_T3_S2_llNS_24const_host_device_scalarIT7_EEPKT2_PKS2_PKT4_PKT5_llS5_PT6_ll16rocsparse_order_21rocsparse_index_base_b,"axG",@progbits,_ZN9rocsparseL29bsrmmnt_small_blockdim_kernelILj64ELj32ELj2EllDF16_DF16_ffEEv20rocsparse_direction_T3_S2_llNS_24const_host_device_scalarIT7_EEPKT2_PKS2_PKT4_PKT5_llS5_PT6_ll16rocsparse_order_21rocsparse_index_base_b,comdat
	.globl	_ZN9rocsparseL29bsrmmnt_small_blockdim_kernelILj64ELj32ELj2EllDF16_DF16_ffEEv20rocsparse_direction_T3_S2_llNS_24const_host_device_scalarIT7_EEPKT2_PKS2_PKT4_PKT5_llS5_PT6_ll16rocsparse_order_21rocsparse_index_base_b ; -- Begin function _ZN9rocsparseL29bsrmmnt_small_blockdim_kernelILj64ELj32ELj2EllDF16_DF16_ffEEv20rocsparse_direction_T3_S2_llNS_24const_host_device_scalarIT7_EEPKT2_PKS2_PKT4_PKT5_llS5_PT6_ll16rocsparse_order_21rocsparse_index_base_b
	.p2align	8
	.type	_ZN9rocsparseL29bsrmmnt_small_blockdim_kernelILj64ELj32ELj2EllDF16_DF16_ffEEv20rocsparse_direction_T3_S2_llNS_24const_host_device_scalarIT7_EEPKT2_PKS2_PKT4_PKT5_llS5_PT6_ll16rocsparse_order_21rocsparse_index_base_b,@function
_ZN9rocsparseL29bsrmmnt_small_blockdim_kernelILj64ELj32ELj2EllDF16_DF16_ffEEv20rocsparse_direction_T3_S2_llNS_24const_host_device_scalarIT7_EEPKT2_PKS2_PKT4_PKT5_llS5_PT6_ll16rocsparse_order_21rocsparse_index_base_b: ; @_ZN9rocsparseL29bsrmmnt_small_blockdim_kernelILj64ELj32ELj2EllDF16_DF16_ffEEv20rocsparse_direction_T3_S2_llNS_24const_host_device_scalarIT7_EEPKT2_PKS2_PKT4_PKT5_llS5_PT6_ll16rocsparse_order_21rocsparse_index_base_b
; %bb.0:
	s_clause 0x2
	s_load_b96 s[20:22], s[0:1], 0x80
	s_load_b64 s[2:3], s[0:1], 0x28
	s_load_b64 s[24:25], s[0:1], 0x60
	s_wait_kmcnt 0x0
	s_bitcmp1_b32 s22, 0
	s_cselect_b32 s4, -1, 0
	s_delay_alu instid0(SALU_CYCLE_1)
	s_and_b32 vcc_lo, exec_lo, s4
	s_xor_b32 s4, s4, -1
	s_cbranch_vccnz .LBB79_2
; %bb.1:
	s_load_b32 s2, s[2:3], 0x0
.LBB79_2:
	s_and_not1_b32 vcc_lo, exec_lo, s4
	s_cbranch_vccnz .LBB79_4
; %bb.3:
	s_load_b32 s24, s[24:25], 0x0
.LBB79_4:
	s_wait_kmcnt 0x0
	s_cmp_eq_f32 s2, 0
	s_cselect_b32 s3, -1, 0
	s_cmp_eq_f32 s24, 1.0
	s_cselect_b32 s4, -1, 0
	s_delay_alu instid0(SALU_CYCLE_1) | instskip(NEXT) | instid1(SALU_CYCLE_1)
	s_and_b32 s3, s3, s4
	s_and_b32 vcc_lo, exec_lo, s3
	s_cbranch_vccnz .LBB79_30
; %bb.5:
	s_clause 0x1
	s_load_b32 s3, s[0:1], 0x9c
	s_load_b128 s[12:15], s[0:1], 0x8
	s_bfe_u32 s4, ttmp6, 0x4000c
	s_and_b32 s5, ttmp6, 15
	s_add_co_i32 s4, s4, 1
	s_getreg_b32 s6, hwreg(HW_REG_IB_STS2, 6, 4)
	s_mul_i32 s4, ttmp9, s4
	s_delay_alu instid0(SALU_CYCLE_1) | instskip(SKIP_4) | instid1(SALU_CYCLE_1)
	s_add_co_i32 s5, s5, s4
	s_wait_kmcnt 0x0
	s_and_b32 s3, s3, 0xffff
	s_cmp_eq_u32 s6, 0
	s_cselect_b32 s4, ttmp9, s5
	v_mad_u32 v1, s4, s3, v0
	v_mov_b32_e32 v3, 0
	s_mov_b32 s3, exec_lo
	s_delay_alu instid0(VALU_DEP_2) | instskip(NEXT) | instid1(VALU_DEP_1)
	v_lshrrev_b32_e32 v2, 6, v1
	v_cmpx_gt_i64_e64 s[12:13], v[2:3]
	s_cbranch_execz .LBB79_30
; %bb.6:
	v_cmp_lt_i64_e64 s3, s[14:15], 1
	s_and_b32 vcc_lo, exec_lo, s3
	s_cbranch_vccnz .LBB79_30
; %bb.7:
	s_load_b256 s[4:11], s[0:1], 0x30
	v_dual_lshlrev_b32 v2, 3, v2 :: v_dual_lshrrev_b32 v4, 5, v1
	s_load_b128 s[16:19], s[0:1], 0x68
	v_dual_mov_b32 v5, 0 :: v_dual_lshrrev_b32 v1, 4, v1
	s_cmp_neq_f32 s24, 0
	s_mov_b32 s13, 0
	s_mov_b32 s12, s21
	s_delay_alu instid0(VALU_DEP_1)
	v_dual_mov_b32 v9, v5 :: v_dual_bitop2_b32 v8, 2, v1 bitop3:0x40
	s_cselect_b32 s3, -1, 0
	s_cmp_lg_u32 s20, 1
	s_cselect_b32 s22, -1, 0
	s_wait_kmcnt 0x0
	global_load_b128 v[12:15], v2, s[4:5]
	s_wait_xcnt 0x0
	s_load_b64 s[4:5], s[0:1], 0x50
	v_add_nc_u64_e32 v[10:11], s[8:9], v[8:9]
	v_mul_u64_e32 v[6:7], s[18:19], v[4:5]
	s_wait_xcnt 0x0
	s_load_b32 s0, s[0:1], 0x0
	v_dual_lshrrev_b32 v0, 5, v0 :: v_dual_bitop2_b32 v2, 31, v0 bitop3:0x40
	v_mov_b32_e32 v3, v5
	s_mov_b32 s9, s13
	v_add_nc_u64_e32 v[8:9], v[10:11], v[8:9]
	s_delay_alu instid0(VALU_DEP_3) | instskip(SKIP_2) | instid1(VALU_DEP_2)
	v_mul_u32_u24_e32 v16, 6, v2
	v_lshlrev_b32_e32 v22, 8, v0
	v_mul_u32_u24_e32 v0, 0xc0, v0
	v_lshl_or_b32 v23, v2, 3, v22
	s_delay_alu instid0(VALU_DEP_2) | instskip(NEXT) | instid1(VALU_DEP_1)
	v_or_b32_e32 v24, 0x200, v0
	v_add_nc_u32_e32 v25, v24, v16
	s_wait_kmcnt 0x0
	s_cmp_eq_u32 s0, 0
	s_cselect_b32 vcc_lo, -1, 0
	v_lshlrev_b32_e32 v4, 2, v4
	s_and_b32 s1, vcc_lo, exec_lo
	s_cselect_b32 s8, 2, 4
	s_lshl_b64 s[20:21], s[4:5], 1
	s_delay_alu instid0(VALU_DEP_1)
	v_add_nc_u64_e32 v[0:1], s[16:17], v[4:5]
	v_dual_cndmask_b32 v5, v11, v9 :: v_dual_cndmask_b32 v4, v10, v8
	v_lshl_add_u64 v[6:7], v[6:7], 2, s[16:17]
	s_mov_b64 s[16:17], 0
	s_wait_loadcnt 0x0
	v_sub_nc_u64_e64 v[8:9], v[12:13], s[12:13]
	v_sub_nc_u64_e64 v[10:11], v[14:15], s[12:13]
	v_cmp_lt_i64_e64 s0, v[12:13], v[14:15]
	s_branch .LBB79_9
.LBB79_8:                               ;   in Loop: Header=BB79_9 Depth=1
	s_wait_xcnt 0x0
	s_or_b32 exec_lo, exec_lo, s1
	s_add_nc_u64 s[16:17], s[16:17], 32
	s_delay_alu instid0(SALU_CYCLE_1)
	v_cmp_lt_i64_e64 s1, s[16:17], s[14:15]
	s_and_b32 vcc_lo, exec_lo, s1
	s_cbranch_vccz .LBB79_30
.LBB79_9:                               ; =>This Loop Header: Depth=1
                                        ;     Child Loop BB79_12 Depth 2
                                        ;       Child Loop BB79_16 Depth 3
	v_dual_mov_b32 v13, s17 :: v_dual_bitop2_b32 v12, s16, v2 bitop3:0x54
	v_mov_b32_e32 v26, 0
	s_delay_alu instid0(VALU_DEP_3)
	s_and_saveexec_b32 s23, s0
	s_cbranch_execz .LBB79_18
; %bb.10:                               ;   in Loop: Header=BB79_9 Depth=1
	v_mov_b64_e32 v[16:17], v[8:9]
	v_lshl_add_u64 v[14:15], v[12:13], 1, s[10:11]
	v_mov_b32_e32 v26, 0
	s_mov_b32 s25, 0
	v_cmp_gt_i64_e32 vcc_lo, s[14:15], v[12:13]
	s_branch .LBB79_12
.LBB79_11:                              ;   in Loop: Header=BB79_12 Depth=2
	s_or_b32 exec_lo, exec_lo, s1
	v_add_nc_u64_e32 v[16:17], 32, v[16:17]
	s_delay_alu instid0(VALU_DEP_1) | instskip(SKIP_1) | instid1(SALU_CYCLE_1)
	v_cmp_ge_i64_e64 s1, v[16:17], v[10:11]
	s_or_b32 s25, s1, s25
	s_and_not1_b32 exec_lo, exec_lo, s25
	s_cbranch_execz .LBB79_17
.LBB79_12:                              ;   Parent Loop BB79_9 Depth=1
                                        ; =>  This Loop Header: Depth=2
                                        ;       Child Loop BB79_16 Depth 3
	s_delay_alu instid0(VALU_DEP_4) | instskip(SKIP_3) | instid1(VALU_DEP_3)
	v_add_nc_u64_e32 v[20:21], v[16:17], v[2:3]
	v_mov_b64_e32 v[18:19], 0
	v_dual_mov_b32 v27, 0 :: v_dual_mov_b32 v28, 0
	s_mov_b32 s26, exec_lo
	v_cmpx_lt_i64_e64 v[20:21], v[10:11]
	s_cbranch_execz .LBB79_14
; %bb.13:                               ;   in Loop: Header=BB79_12 Depth=2
	v_lshlrev_b64_e32 v[18:19], 3, v[20:21]
	s_delay_alu instid0(VALU_DEP_1)
	v_add_nc_u64_e32 v[20:21], s[6:7], v[18:19]
	v_add_nc_u64_e32 v[18:19], v[4:5], v[18:19]
	global_load_b64 v[20:21], v[20:21], off
	v_add_nc_u64_e32 v[30:31], s[8:9], v[18:19]
	s_clause 0x1
	global_load_u16 v27, v[18:19], off
	global_load_u16 v28, v[30:31], off
	s_wait_loadcnt 0x2
	s_wait_xcnt 0x1
	v_sub_nc_u64_e64 v[18:19], v[20:21], s[12:13]
	s_delay_alu instid0(VALU_DEP_1)
	v_lshlrev_b64_e32 v[18:19], 1, v[18:19]
.LBB79_14:                              ;   in Loop: Header=BB79_12 Depth=2
	s_wait_xcnt 0x0
	s_or_b32 exec_lo, exec_lo, s26
	ds_store_b64 v23, v[18:19]
	s_wait_loadcnt 0x1
	ds_store_b16 v25, v27
	s_wait_loadcnt 0x0
	ds_store_b16 v25, v28 offset:2
	s_wait_dscnt 0x0
	s_barrier_signal -1
	s_barrier_wait -1
	s_and_saveexec_b32 s1, vcc_lo
	s_cbranch_execz .LBB79_11
; %bb.15:                               ;   in Loop: Header=BB79_12 Depth=2
	v_mov_b32_e32 v18, v24
	s_mov_b32 s26, 0
.LBB79_16:                              ;   Parent Loop BB79_9 Depth=1
                                        ;     Parent Loop BB79_12 Depth=2
                                        ; =>    This Inner Loop Header: Depth=3
	s_delay_alu instid0(SALU_CYCLE_1) | instskip(SKIP_1) | instid1(SALU_CYCLE_1)
	v_add_nc_u32_e32 v19, s26, v22
	s_add_co_i32 s26, s26, 16
	s_cmp_lg_u32 s26, 0x100
	ds_load_b128 v[28:31], v19
	s_wait_dscnt 0x0
	v_mul_u64_e32 v[20:21], s[4:5], v[28:29]
	v_mul_u64_e32 v[28:29], s[4:5], v[30:31]
	s_delay_alu instid0(VALU_DEP_2) | instskip(NEXT) | instid1(VALU_DEP_1)
	v_lshl_add_u64 v[20:21], v[20:21], 1, v[14:15]
	v_add_nc_u64_e32 v[30:31], s[20:21], v[20:21]
	s_clause 0x1
	global_load_u16 v19, v[20:21], off
	global_load_u16 v27, v[30:31], off
	s_wait_xcnt 0x1
	v_lshl_add_u64 v[20:21], v[28:29], 1, v[14:15]
	s_delay_alu instid0(VALU_DEP_1)
	v_add_nc_u64_e32 v[28:29], s[20:21], v[20:21]
	s_clause 0x1
	global_load_u16 v30, v[20:21], off
	global_load_u16 v31, v[28:29], off
	s_wait_xcnt 0x1
	ds_load_b32 v20, v18
	ds_load_u16 v21, v18 offset:6
	s_wait_xcnt 0x0
	ds_load_u16 v28, v18 offset:8
	v_add_nc_u32_e32 v18, 12, v18
	s_wait_loadcnt_dscnt 0x302
	v_fma_mix_f32 v19, v20, v19, v26 op_sel_hi:[1,1,0]
	s_wait_loadcnt 0x2
	s_delay_alu instid0(VALU_DEP_1) | instskip(SKIP_1) | instid1(VALU_DEP_1)
	v_fma_mix_f32 v19, v20, v27, v19 op_sel:[1,0,0] op_sel_hi:[1,1,0]
	s_wait_loadcnt_dscnt 0x101
	v_fma_mix_f32 v19, v21, v30, v19 op_sel_hi:[1,1,0]
	s_wait_loadcnt_dscnt 0x0
	s_delay_alu instid0(VALU_DEP_1)
	v_fma_mix_f32 v26, v28, v31, v19 op_sel_hi:[1,1,0]
	s_cbranch_scc1 .LBB79_16
	s_branch .LBB79_11
.LBB79_17:                              ;   in Loop: Header=BB79_9 Depth=1
	s_or_b32 exec_lo, exec_lo, s25
.LBB79_18:                              ;   in Loop: Header=BB79_9 Depth=1
	s_delay_alu instid0(SALU_CYCLE_1) | instskip(NEXT) | instid1(SALU_CYCLE_1)
	s_or_b32 exec_lo, exec_lo, s23
	s_mov_b32 s1, exec_lo
	v_cmpx_gt_i64_e64 s[14:15], v[12:13]
	s_cbranch_execz .LBB79_8
; %bb.19:                               ;   in Loop: Header=BB79_9 Depth=1
	s_and_b32 vcc_lo, exec_lo, s3
	s_cbranch_vccz .LBB79_25
; %bb.20:                               ;   in Loop: Header=BB79_9 Depth=1
	s_and_b32 vcc_lo, exec_lo, s22
	s_mov_b32 s23, -1
	s_cbranch_vccz .LBB79_22
; %bb.21:                               ;   in Loop: Header=BB79_9 Depth=1
	v_lshl_add_u64 v[14:15], v[12:13], 2, v[6:7]
	v_mul_f32_e32 v17, s2, v26
	s_mov_b32 s23, 0
	global_load_b32 v16, v[14:15], off
	s_wait_loadcnt 0x0
	v_fmac_f32_e32 v17, s24, v16
	global_store_b32 v[14:15], v17, off
.LBB79_22:                              ;   in Loop: Header=BB79_9 Depth=1
	s_and_not1_b32 vcc_lo, exec_lo, s23
	s_cbranch_vccnz .LBB79_24
; %bb.23:                               ;   in Loop: Header=BB79_9 Depth=1
	s_wait_xcnt 0x0
	v_mul_u64_e32 v[14:15], s[18:19], v[12:13]
	v_mul_f32_e32 v17, s2, v26
	s_delay_alu instid0(VALU_DEP_2)
	v_lshl_add_u64 v[14:15], v[14:15], 2, v[0:1]
	global_load_b32 v16, v[14:15], off
	s_wait_loadcnt 0x0
	v_fmac_f32_e32 v17, s24, v16
	global_store_b32 v[14:15], v17, off
.LBB79_24:                              ;   in Loop: Header=BB79_9 Depth=1
	s_cbranch_execnz .LBB79_8
	s_branch .LBB79_26
.LBB79_25:                              ;   in Loop: Header=BB79_9 Depth=1
.LBB79_26:                              ;   in Loop: Header=BB79_9 Depth=1
	s_wait_xcnt 0x0
	v_mul_f32_e32 v14, s2, v26
	s_and_b32 vcc_lo, exec_lo, s22
	s_mov_b32 s23, -1
	s_cbranch_vccz .LBB79_28
; %bb.27:                               ;   in Loop: Header=BB79_9 Depth=1
	v_lshl_add_u64 v[16:17], v[12:13], 2, v[6:7]
	s_mov_b32 s23, 0
	global_store_b32 v[16:17], v14, off
.LBB79_28:                              ;   in Loop: Header=BB79_9 Depth=1
	s_and_not1_b32 vcc_lo, exec_lo, s23
	s_cbranch_vccnz .LBB79_8
; %bb.29:                               ;   in Loop: Header=BB79_9 Depth=1
	v_mul_u64_e32 v[12:13], s[18:19], v[12:13]
	s_delay_alu instid0(VALU_DEP_1)
	v_lshl_add_u64 v[12:13], v[12:13], 2, v[0:1]
	global_store_b32 v[12:13], v14, off
	s_branch .LBB79_8
.LBB79_30:
	s_endpgm
	.section	.rodata,"a",@progbits
	.p2align	6, 0x0
	.amdhsa_kernel _ZN9rocsparseL29bsrmmnt_small_blockdim_kernelILj64ELj32ELj2EllDF16_DF16_ffEEv20rocsparse_direction_T3_S2_llNS_24const_host_device_scalarIT7_EEPKT2_PKS2_PKT4_PKT5_llS5_PT6_ll16rocsparse_order_21rocsparse_index_base_b
		.amdhsa_group_segment_fixed_size 896
		.amdhsa_private_segment_fixed_size 0
		.amdhsa_kernarg_size 400
		.amdhsa_user_sgpr_count 2
		.amdhsa_user_sgpr_dispatch_ptr 0
		.amdhsa_user_sgpr_queue_ptr 0
		.amdhsa_user_sgpr_kernarg_segment_ptr 1
		.amdhsa_user_sgpr_dispatch_id 0
		.amdhsa_user_sgpr_kernarg_preload_length 0
		.amdhsa_user_sgpr_kernarg_preload_offset 0
		.amdhsa_user_sgpr_private_segment_size 0
		.amdhsa_wavefront_size32 1
		.amdhsa_uses_dynamic_stack 0
		.amdhsa_enable_private_segment 0
		.amdhsa_system_sgpr_workgroup_id_x 1
		.amdhsa_system_sgpr_workgroup_id_y 0
		.amdhsa_system_sgpr_workgroup_id_z 0
		.amdhsa_system_sgpr_workgroup_info 0
		.amdhsa_system_vgpr_workitem_id 0
		.amdhsa_next_free_vgpr 32
		.amdhsa_next_free_sgpr 27
		.amdhsa_named_barrier_count 0
		.amdhsa_reserve_vcc 1
		.amdhsa_float_round_mode_32 0
		.amdhsa_float_round_mode_16_64 0
		.amdhsa_float_denorm_mode_32 3
		.amdhsa_float_denorm_mode_16_64 3
		.amdhsa_fp16_overflow 0
		.amdhsa_memory_ordered 1
		.amdhsa_forward_progress 1
		.amdhsa_inst_pref_size 11
		.amdhsa_round_robin_scheduling 0
		.amdhsa_exception_fp_ieee_invalid_op 0
		.amdhsa_exception_fp_denorm_src 0
		.amdhsa_exception_fp_ieee_div_zero 0
		.amdhsa_exception_fp_ieee_overflow 0
		.amdhsa_exception_fp_ieee_underflow 0
		.amdhsa_exception_fp_ieee_inexact 0
		.amdhsa_exception_int_div_zero 0
	.end_amdhsa_kernel
	.section	.text._ZN9rocsparseL29bsrmmnt_small_blockdim_kernelILj64ELj32ELj2EllDF16_DF16_ffEEv20rocsparse_direction_T3_S2_llNS_24const_host_device_scalarIT7_EEPKT2_PKS2_PKT4_PKT5_llS5_PT6_ll16rocsparse_order_21rocsparse_index_base_b,"axG",@progbits,_ZN9rocsparseL29bsrmmnt_small_blockdim_kernelILj64ELj32ELj2EllDF16_DF16_ffEEv20rocsparse_direction_T3_S2_llNS_24const_host_device_scalarIT7_EEPKT2_PKS2_PKT4_PKT5_llS5_PT6_ll16rocsparse_order_21rocsparse_index_base_b,comdat
.Lfunc_end79:
	.size	_ZN9rocsparseL29bsrmmnt_small_blockdim_kernelILj64ELj32ELj2EllDF16_DF16_ffEEv20rocsparse_direction_T3_S2_llNS_24const_host_device_scalarIT7_EEPKT2_PKS2_PKT4_PKT5_llS5_PT6_ll16rocsparse_order_21rocsparse_index_base_b, .Lfunc_end79-_ZN9rocsparseL29bsrmmnt_small_blockdim_kernelILj64ELj32ELj2EllDF16_DF16_ffEEv20rocsparse_direction_T3_S2_llNS_24const_host_device_scalarIT7_EEPKT2_PKS2_PKT4_PKT5_llS5_PT6_ll16rocsparse_order_21rocsparse_index_base_b
                                        ; -- End function
	.set _ZN9rocsparseL29bsrmmnt_small_blockdim_kernelILj64ELj32ELj2EllDF16_DF16_ffEEv20rocsparse_direction_T3_S2_llNS_24const_host_device_scalarIT7_EEPKT2_PKS2_PKT4_PKT5_llS5_PT6_ll16rocsparse_order_21rocsparse_index_base_b.num_vgpr, 32
	.set _ZN9rocsparseL29bsrmmnt_small_blockdim_kernelILj64ELj32ELj2EllDF16_DF16_ffEEv20rocsparse_direction_T3_S2_llNS_24const_host_device_scalarIT7_EEPKT2_PKS2_PKT4_PKT5_llS5_PT6_ll16rocsparse_order_21rocsparse_index_base_b.num_agpr, 0
	.set _ZN9rocsparseL29bsrmmnt_small_blockdim_kernelILj64ELj32ELj2EllDF16_DF16_ffEEv20rocsparse_direction_T3_S2_llNS_24const_host_device_scalarIT7_EEPKT2_PKS2_PKT4_PKT5_llS5_PT6_ll16rocsparse_order_21rocsparse_index_base_b.numbered_sgpr, 27
	.set _ZN9rocsparseL29bsrmmnt_small_blockdim_kernelILj64ELj32ELj2EllDF16_DF16_ffEEv20rocsparse_direction_T3_S2_llNS_24const_host_device_scalarIT7_EEPKT2_PKS2_PKT4_PKT5_llS5_PT6_ll16rocsparse_order_21rocsparse_index_base_b.num_named_barrier, 0
	.set _ZN9rocsparseL29bsrmmnt_small_blockdim_kernelILj64ELj32ELj2EllDF16_DF16_ffEEv20rocsparse_direction_T3_S2_llNS_24const_host_device_scalarIT7_EEPKT2_PKS2_PKT4_PKT5_llS5_PT6_ll16rocsparse_order_21rocsparse_index_base_b.private_seg_size, 0
	.set _ZN9rocsparseL29bsrmmnt_small_blockdim_kernelILj64ELj32ELj2EllDF16_DF16_ffEEv20rocsparse_direction_T3_S2_llNS_24const_host_device_scalarIT7_EEPKT2_PKS2_PKT4_PKT5_llS5_PT6_ll16rocsparse_order_21rocsparse_index_base_b.uses_vcc, 1
	.set _ZN9rocsparseL29bsrmmnt_small_blockdim_kernelILj64ELj32ELj2EllDF16_DF16_ffEEv20rocsparse_direction_T3_S2_llNS_24const_host_device_scalarIT7_EEPKT2_PKS2_PKT4_PKT5_llS5_PT6_ll16rocsparse_order_21rocsparse_index_base_b.uses_flat_scratch, 0
	.set _ZN9rocsparseL29bsrmmnt_small_blockdim_kernelILj64ELj32ELj2EllDF16_DF16_ffEEv20rocsparse_direction_T3_S2_llNS_24const_host_device_scalarIT7_EEPKT2_PKS2_PKT4_PKT5_llS5_PT6_ll16rocsparse_order_21rocsparse_index_base_b.has_dyn_sized_stack, 0
	.set _ZN9rocsparseL29bsrmmnt_small_blockdim_kernelILj64ELj32ELj2EllDF16_DF16_ffEEv20rocsparse_direction_T3_S2_llNS_24const_host_device_scalarIT7_EEPKT2_PKS2_PKT4_PKT5_llS5_PT6_ll16rocsparse_order_21rocsparse_index_base_b.has_recursion, 0
	.set _ZN9rocsparseL29bsrmmnt_small_blockdim_kernelILj64ELj32ELj2EllDF16_DF16_ffEEv20rocsparse_direction_T3_S2_llNS_24const_host_device_scalarIT7_EEPKT2_PKS2_PKT4_PKT5_llS5_PT6_ll16rocsparse_order_21rocsparse_index_base_b.has_indirect_call, 0
	.section	.AMDGPU.csdata,"",@progbits
; Kernel info:
; codeLenInByte = 1320
; TotalNumSgprs: 29
; NumVgprs: 32
; ScratchSize: 0
; MemoryBound: 0
; FloatMode: 240
; IeeeMode: 1
; LDSByteSize: 896 bytes/workgroup (compile time only)
; SGPRBlocks: 0
; VGPRBlocks: 1
; NumSGPRsForWavesPerEU: 29
; NumVGPRsForWavesPerEU: 32
; NamedBarCnt: 0
; Occupancy: 16
; WaveLimiterHint : 1
; COMPUTE_PGM_RSRC2:SCRATCH_EN: 0
; COMPUTE_PGM_RSRC2:USER_SGPR: 2
; COMPUTE_PGM_RSRC2:TRAP_HANDLER: 0
; COMPUTE_PGM_RSRC2:TGID_X_EN: 1
; COMPUTE_PGM_RSRC2:TGID_Y_EN: 0
; COMPUTE_PGM_RSRC2:TGID_Z_EN: 0
; COMPUTE_PGM_RSRC2:TIDIG_COMP_CNT: 0
	.section	.text._ZN9rocsparseL29bsrmmnt_small_blockdim_kernelILj64ELj64ELj2EllDF16_DF16_ffEEv20rocsparse_direction_T3_S2_llNS_24const_host_device_scalarIT7_EEPKT2_PKS2_PKT4_PKT5_llS5_PT6_ll16rocsparse_order_21rocsparse_index_base_b,"axG",@progbits,_ZN9rocsparseL29bsrmmnt_small_blockdim_kernelILj64ELj64ELj2EllDF16_DF16_ffEEv20rocsparse_direction_T3_S2_llNS_24const_host_device_scalarIT7_EEPKT2_PKS2_PKT4_PKT5_llS5_PT6_ll16rocsparse_order_21rocsparse_index_base_b,comdat
	.globl	_ZN9rocsparseL29bsrmmnt_small_blockdim_kernelILj64ELj64ELj2EllDF16_DF16_ffEEv20rocsparse_direction_T3_S2_llNS_24const_host_device_scalarIT7_EEPKT2_PKS2_PKT4_PKT5_llS5_PT6_ll16rocsparse_order_21rocsparse_index_base_b ; -- Begin function _ZN9rocsparseL29bsrmmnt_small_blockdim_kernelILj64ELj64ELj2EllDF16_DF16_ffEEv20rocsparse_direction_T3_S2_llNS_24const_host_device_scalarIT7_EEPKT2_PKS2_PKT4_PKT5_llS5_PT6_ll16rocsparse_order_21rocsparse_index_base_b
	.p2align	8
	.type	_ZN9rocsparseL29bsrmmnt_small_blockdim_kernelILj64ELj64ELj2EllDF16_DF16_ffEEv20rocsparse_direction_T3_S2_llNS_24const_host_device_scalarIT7_EEPKT2_PKS2_PKT4_PKT5_llS5_PT6_ll16rocsparse_order_21rocsparse_index_base_b,@function
_ZN9rocsparseL29bsrmmnt_small_blockdim_kernelILj64ELj64ELj2EllDF16_DF16_ffEEv20rocsparse_direction_T3_S2_llNS_24const_host_device_scalarIT7_EEPKT2_PKS2_PKT4_PKT5_llS5_PT6_ll16rocsparse_order_21rocsparse_index_base_b: ; @_ZN9rocsparseL29bsrmmnt_small_blockdim_kernelILj64ELj64ELj2EllDF16_DF16_ffEEv20rocsparse_direction_T3_S2_llNS_24const_host_device_scalarIT7_EEPKT2_PKS2_PKT4_PKT5_llS5_PT6_ll16rocsparse_order_21rocsparse_index_base_b
; %bb.0:
	s_clause 0x2
	s_load_b96 s[20:22], s[0:1], 0x80
	s_load_b64 s[2:3], s[0:1], 0x28
	s_load_b64 s[24:25], s[0:1], 0x60
	s_wait_kmcnt 0x0
	s_bitcmp1_b32 s22, 0
	s_cselect_b32 s4, -1, 0
	s_delay_alu instid0(SALU_CYCLE_1)
	s_and_b32 vcc_lo, exec_lo, s4
	s_xor_b32 s4, s4, -1
	s_cbranch_vccnz .LBB80_2
; %bb.1:
	s_load_b32 s2, s[2:3], 0x0
.LBB80_2:
	s_and_not1_b32 vcc_lo, exec_lo, s4
	s_cbranch_vccnz .LBB80_4
; %bb.3:
	s_load_b32 s24, s[24:25], 0x0
.LBB80_4:
	s_wait_kmcnt 0x0
	s_cmp_eq_f32 s2, 0
	s_cselect_b32 s3, -1, 0
	s_cmp_eq_f32 s24, 1.0
	s_cselect_b32 s4, -1, 0
	s_delay_alu instid0(SALU_CYCLE_1) | instskip(NEXT) | instid1(SALU_CYCLE_1)
	s_and_b32 s3, s3, s4
	s_and_b32 vcc_lo, exec_lo, s3
	s_cbranch_vccnz .LBB80_30
; %bb.5:
	s_clause 0x1
	s_load_b32 s3, s[0:1], 0x9c
	s_load_b128 s[12:15], s[0:1], 0x8
	s_bfe_u32 s4, ttmp6, 0x4000c
	s_and_b32 s5, ttmp6, 15
	s_add_co_i32 s4, s4, 1
	s_getreg_b32 s6, hwreg(HW_REG_IB_STS2, 6, 4)
	s_mul_i32 s4, ttmp9, s4
	s_delay_alu instid0(SALU_CYCLE_1) | instskip(SKIP_4) | instid1(SALU_CYCLE_1)
	s_add_co_i32 s5, s5, s4
	s_wait_kmcnt 0x0
	s_and_b32 s3, s3, 0xffff
	s_cmp_eq_u32 s6, 0
	s_cselect_b32 s4, ttmp9, s5
	v_mad_u32 v1, s4, s3, v0
	v_mov_b32_e32 v3, 0
	s_mov_b32 s3, exec_lo
	s_delay_alu instid0(VALU_DEP_2) | instskip(NEXT) | instid1(VALU_DEP_1)
	v_lshrrev_b32_e32 v2, 7, v1
	v_cmpx_gt_i64_e64 s[12:13], v[2:3]
	s_cbranch_execz .LBB80_30
; %bb.6:
	v_cmp_lt_i64_e64 s3, s[14:15], 1
	s_and_b32 vcc_lo, exec_lo, s3
	s_cbranch_vccnz .LBB80_30
; %bb.7:
	s_load_b256 s[4:11], s[0:1], 0x30
	v_dual_mov_b32 v3, 0 :: v_dual_lshlrev_b32 v2, 3, v2
	s_load_b128 s[16:19], s[0:1], 0x68
	s_cmp_neq_f32 s24, 0
	v_mul_u32_u24_e32 v16, 6, v0
	s_mov_b32 s13, 0
	s_mov_b32 s12, s21
	s_cselect_b32 s3, -1, 0
	s_cmp_lg_u32 s20, 1
	v_add_nc_u32_e32 v23, 0x200, v16
	s_cselect_b32 s22, -1, 0
	v_mov_b32_e32 v5, v3
	s_wait_kmcnt 0x0
	global_load_b128 v[12:15], v2, s[4:5]
	s_wait_xcnt 0x0
	v_dual_lshrrev_b32 v2, 6, v1 :: v_dual_lshrrev_b32 v1, 5, v1
	s_load_b64 s[4:5], s[0:1], 0x50
	v_lshlrev_b32_e32 v22, 3, v0
	s_wait_xcnt 0x0
	s_load_b32 s0, s[0:1], 0x0
	v_mul_u64_e32 v[6:7], s[18:19], v[2:3]
	v_dual_lshlrev_b32 v2, 2, v2 :: v_dual_bitop2_b32 v4, 2, v1 bitop3:0x40
	s_delay_alu instid0(VALU_DEP_1) | instskip(SKIP_1) | instid1(VALU_DEP_1)
	v_add_nc_u64_e32 v[8:9], s[8:9], v[4:5]
	s_mov_b32 s9, s13
	v_add_nc_u64_e32 v[4:5], v[8:9], v[4:5]
	s_wait_kmcnt 0x0
	s_cmp_eq_u32 s0, 0
	s_cselect_b32 vcc_lo, -1, 0
	s_delay_alu instid0(VALU_DEP_1) | instid1(SALU_CYCLE_1)
	v_dual_mov_b32 v1, v3 :: v_dual_cndmask_b32 v5, v9, v5, vcc_lo
	v_add_nc_u64_e32 v[2:3], s[16:17], v[2:3]
	s_delay_alu instid0(VALU_DEP_3)
	v_cndmask_b32_e32 v4, v8, v4, vcc_lo
	s_and_b32 s1, vcc_lo, exec_lo
	s_cselect_b32 s8, 2, 4
	s_lshl_b64 s[20:21], s[4:5], 1
	v_lshl_add_u64 v[6:7], v[6:7], 2, s[16:17]
	s_mov_b64 s[16:17], 0
	s_wait_loadcnt 0x0
	v_sub_nc_u64_e64 v[8:9], v[12:13], s[12:13]
	v_sub_nc_u64_e64 v[10:11], v[14:15], s[12:13]
	v_cmp_lt_i64_e64 s0, v[12:13], v[14:15]
	s_branch .LBB80_9
.LBB80_8:                               ;   in Loop: Header=BB80_9 Depth=1
	s_wait_xcnt 0x0
	s_or_b32 exec_lo, exec_lo, s1
	s_add_nc_u64 s[16:17], s[16:17], 64
	s_delay_alu instid0(SALU_CYCLE_1)
	v_cmp_lt_i64_e64 s1, s[16:17], s[14:15]
	s_and_b32 vcc_lo, exec_lo, s1
	s_cbranch_vccz .LBB80_30
.LBB80_9:                               ; =>This Loop Header: Depth=1
                                        ;     Child Loop BB80_12 Depth 2
                                        ;       Child Loop BB80_16 Depth 3
	v_dual_mov_b32 v13, s17 :: v_dual_bitop2_b32 v12, s16, v0 bitop3:0x54
	v_mov_b32_e32 v24, 0
	s_delay_alu instid0(VALU_DEP_3)
	s_and_saveexec_b32 s23, s0
	s_cbranch_execz .LBB80_18
; %bb.10:                               ;   in Loop: Header=BB80_9 Depth=1
	v_mov_b64_e32 v[16:17], v[8:9]
	v_lshl_add_u64 v[14:15], v[12:13], 1, s[10:11]
	v_mov_b32_e32 v24, 0
	s_mov_b32 s25, 0
	v_cmp_gt_i64_e32 vcc_lo, s[14:15], v[12:13]
	s_branch .LBB80_12
.LBB80_11:                              ;   in Loop: Header=BB80_12 Depth=2
	s_or_b32 exec_lo, exec_lo, s1
	v_add_nc_u64_e32 v[16:17], 64, v[16:17]
	s_delay_alu instid0(VALU_DEP_1) | instskip(SKIP_1) | instid1(SALU_CYCLE_1)
	v_cmp_ge_i64_e64 s1, v[16:17], v[10:11]
	s_or_b32 s25, s1, s25
	s_and_not1_b32 exec_lo, exec_lo, s25
	s_cbranch_execz .LBB80_17
.LBB80_12:                              ;   Parent Loop BB80_9 Depth=1
                                        ; =>  This Loop Header: Depth=2
                                        ;       Child Loop BB80_16 Depth 3
	s_delay_alu instid0(VALU_DEP_4) | instskip(SKIP_3) | instid1(VALU_DEP_3)
	v_add_nc_u64_e32 v[20:21], v[16:17], v[0:1]
	v_mov_b64_e32 v[18:19], 0
	v_dual_mov_b32 v25, 0 :: v_dual_mov_b32 v26, 0
	s_mov_b32 s26, exec_lo
	v_cmpx_lt_i64_e64 v[20:21], v[10:11]
	s_cbranch_execz .LBB80_14
; %bb.13:                               ;   in Loop: Header=BB80_12 Depth=2
	v_lshlrev_b64_e32 v[18:19], 3, v[20:21]
	s_delay_alu instid0(VALU_DEP_1)
	v_add_nc_u64_e32 v[20:21], s[6:7], v[18:19]
	v_add_nc_u64_e32 v[18:19], v[4:5], v[18:19]
	global_load_b64 v[20:21], v[20:21], off
	v_add_nc_u64_e32 v[28:29], s[8:9], v[18:19]
	s_clause 0x1
	global_load_u16 v25, v[18:19], off
	global_load_u16 v26, v[28:29], off
	s_wait_loadcnt 0x2
	s_wait_xcnt 0x1
	v_sub_nc_u64_e64 v[18:19], v[20:21], s[12:13]
	s_delay_alu instid0(VALU_DEP_1)
	v_lshlrev_b64_e32 v[18:19], 1, v[18:19]
.LBB80_14:                              ;   in Loop: Header=BB80_12 Depth=2
	s_wait_xcnt 0x0
	s_or_b32 exec_lo, exec_lo, s26
	ds_store_b64 v22, v[18:19]
	s_wait_loadcnt 0x1
	ds_store_b16 v23, v25
	s_wait_loadcnt 0x0
	ds_store_b16 v23, v26 offset:2
	s_wait_dscnt 0x0
	s_barrier_signal -1
	s_barrier_wait -1
	s_and_saveexec_b32 s1, vcc_lo
	s_cbranch_execz .LBB80_11
; %bb.15:                               ;   in Loop: Header=BB80_12 Depth=2
	v_mov_b32_e32 v18, 0x200
	s_mov_b32 s26, 0
.LBB80_16:                              ;   Parent Loop BB80_9 Depth=1
                                        ;     Parent Loop BB80_12 Depth=2
                                        ; =>    This Inner Loop Header: Depth=3
	s_delay_alu instid0(SALU_CYCLE_1) | instskip(SKIP_1) | instid1(SALU_CYCLE_1)
	v_mov_b32_e32 v19, s26
	s_add_co_i32 s26, s26, 16
	s_cmp_lg_u32 s26, 0x200
	ds_load_b128 v[26:29], v19
	s_wait_dscnt 0x0
	v_mul_u64_e32 v[20:21], s[4:5], v[26:27]
	v_mul_u64_e32 v[26:27], s[4:5], v[28:29]
	s_delay_alu instid0(VALU_DEP_2) | instskip(NEXT) | instid1(VALU_DEP_1)
	v_lshl_add_u64 v[20:21], v[20:21], 1, v[14:15]
	v_add_nc_u64_e32 v[28:29], s[20:21], v[20:21]
	s_clause 0x1
	global_load_u16 v19, v[20:21], off
	global_load_u16 v25, v[28:29], off
	s_wait_xcnt 0x1
	v_lshl_add_u64 v[20:21], v[26:27], 1, v[14:15]
	s_delay_alu instid0(VALU_DEP_1)
	v_add_nc_u64_e32 v[26:27], s[20:21], v[20:21]
	s_clause 0x1
	global_load_u16 v28, v[20:21], off
	global_load_u16 v29, v[26:27], off
	s_wait_xcnt 0x1
	ds_load_b32 v20, v18
	ds_load_u16 v21, v18 offset:6
	s_wait_xcnt 0x0
	ds_load_u16 v26, v18 offset:8
	v_add_nc_u32_e32 v18, 12, v18
	s_wait_loadcnt_dscnt 0x302
	v_fma_mix_f32 v19, v20, v19, v24 op_sel_hi:[1,1,0]
	s_wait_loadcnt 0x2
	s_delay_alu instid0(VALU_DEP_1) | instskip(SKIP_1) | instid1(VALU_DEP_1)
	v_fma_mix_f32 v19, v20, v25, v19 op_sel:[1,0,0] op_sel_hi:[1,1,0]
	s_wait_loadcnt_dscnt 0x101
	v_fma_mix_f32 v19, v21, v28, v19 op_sel_hi:[1,1,0]
	s_wait_loadcnt_dscnt 0x0
	s_delay_alu instid0(VALU_DEP_1)
	v_fma_mix_f32 v24, v26, v29, v19 op_sel_hi:[1,1,0]
	s_cbranch_scc1 .LBB80_16
	s_branch .LBB80_11
.LBB80_17:                              ;   in Loop: Header=BB80_9 Depth=1
	s_or_b32 exec_lo, exec_lo, s25
.LBB80_18:                              ;   in Loop: Header=BB80_9 Depth=1
	s_delay_alu instid0(SALU_CYCLE_1) | instskip(NEXT) | instid1(SALU_CYCLE_1)
	s_or_b32 exec_lo, exec_lo, s23
	s_mov_b32 s1, exec_lo
	v_cmpx_gt_i64_e64 s[14:15], v[12:13]
	s_cbranch_execz .LBB80_8
; %bb.19:                               ;   in Loop: Header=BB80_9 Depth=1
	s_and_b32 vcc_lo, exec_lo, s3
	s_cbranch_vccz .LBB80_25
; %bb.20:                               ;   in Loop: Header=BB80_9 Depth=1
	s_and_b32 vcc_lo, exec_lo, s22
	s_mov_b32 s23, -1
	s_cbranch_vccz .LBB80_22
; %bb.21:                               ;   in Loop: Header=BB80_9 Depth=1
	v_lshl_add_u64 v[14:15], v[12:13], 2, v[6:7]
	v_mul_f32_e32 v17, s2, v24
	s_mov_b32 s23, 0
	global_load_b32 v16, v[14:15], off
	s_wait_loadcnt 0x0
	v_fmac_f32_e32 v17, s24, v16
	global_store_b32 v[14:15], v17, off
.LBB80_22:                              ;   in Loop: Header=BB80_9 Depth=1
	s_and_not1_b32 vcc_lo, exec_lo, s23
	s_cbranch_vccnz .LBB80_24
; %bb.23:                               ;   in Loop: Header=BB80_9 Depth=1
	s_wait_xcnt 0x0
	v_mul_u64_e32 v[14:15], s[18:19], v[12:13]
	v_mul_f32_e32 v17, s2, v24
	s_delay_alu instid0(VALU_DEP_2)
	v_lshl_add_u64 v[14:15], v[14:15], 2, v[2:3]
	global_load_b32 v16, v[14:15], off
	s_wait_loadcnt 0x0
	v_fmac_f32_e32 v17, s24, v16
	global_store_b32 v[14:15], v17, off
.LBB80_24:                              ;   in Loop: Header=BB80_9 Depth=1
	s_cbranch_execnz .LBB80_8
	s_branch .LBB80_26
.LBB80_25:                              ;   in Loop: Header=BB80_9 Depth=1
.LBB80_26:                              ;   in Loop: Header=BB80_9 Depth=1
	s_wait_xcnt 0x0
	v_mul_f32_e32 v14, s2, v24
	s_and_b32 vcc_lo, exec_lo, s22
	s_mov_b32 s23, -1
	s_cbranch_vccz .LBB80_28
; %bb.27:                               ;   in Loop: Header=BB80_9 Depth=1
	v_lshl_add_u64 v[16:17], v[12:13], 2, v[6:7]
	s_mov_b32 s23, 0
	global_store_b32 v[16:17], v14, off
.LBB80_28:                              ;   in Loop: Header=BB80_9 Depth=1
	s_and_not1_b32 vcc_lo, exec_lo, s23
	s_cbranch_vccnz .LBB80_8
; %bb.29:                               ;   in Loop: Header=BB80_9 Depth=1
	v_mul_u64_e32 v[12:13], s[18:19], v[12:13]
	s_delay_alu instid0(VALU_DEP_1)
	v_lshl_add_u64 v[12:13], v[12:13], 2, v[2:3]
	global_store_b32 v[12:13], v14, off
	s_branch .LBB80_8
.LBB80_30:
	s_endpgm
	.section	.rodata,"a",@progbits
	.p2align	6, 0x0
	.amdhsa_kernel _ZN9rocsparseL29bsrmmnt_small_blockdim_kernelILj64ELj64ELj2EllDF16_DF16_ffEEv20rocsparse_direction_T3_S2_llNS_24const_host_device_scalarIT7_EEPKT2_PKS2_PKT4_PKT5_llS5_PT6_ll16rocsparse_order_21rocsparse_index_base_b
		.amdhsa_group_segment_fixed_size 896
		.amdhsa_private_segment_fixed_size 0
		.amdhsa_kernarg_size 400
		.amdhsa_user_sgpr_count 2
		.amdhsa_user_sgpr_dispatch_ptr 0
		.amdhsa_user_sgpr_queue_ptr 0
		.amdhsa_user_sgpr_kernarg_segment_ptr 1
		.amdhsa_user_sgpr_dispatch_id 0
		.amdhsa_user_sgpr_kernarg_preload_length 0
		.amdhsa_user_sgpr_kernarg_preload_offset 0
		.amdhsa_user_sgpr_private_segment_size 0
		.amdhsa_wavefront_size32 1
		.amdhsa_uses_dynamic_stack 0
		.amdhsa_enable_private_segment 0
		.amdhsa_system_sgpr_workgroup_id_x 1
		.amdhsa_system_sgpr_workgroup_id_y 0
		.amdhsa_system_sgpr_workgroup_id_z 0
		.amdhsa_system_sgpr_workgroup_info 0
		.amdhsa_system_vgpr_workitem_id 0
		.amdhsa_next_free_vgpr 30
		.amdhsa_next_free_sgpr 27
		.amdhsa_named_barrier_count 0
		.amdhsa_reserve_vcc 1
		.amdhsa_float_round_mode_32 0
		.amdhsa_float_round_mode_16_64 0
		.amdhsa_float_denorm_mode_32 3
		.amdhsa_float_denorm_mode_16_64 3
		.amdhsa_fp16_overflow 0
		.amdhsa_memory_ordered 1
		.amdhsa_forward_progress 1
		.amdhsa_inst_pref_size 11
		.amdhsa_round_robin_scheduling 0
		.amdhsa_exception_fp_ieee_invalid_op 0
		.amdhsa_exception_fp_denorm_src 0
		.amdhsa_exception_fp_ieee_div_zero 0
		.amdhsa_exception_fp_ieee_overflow 0
		.amdhsa_exception_fp_ieee_underflow 0
		.amdhsa_exception_fp_ieee_inexact 0
		.amdhsa_exception_int_div_zero 0
	.end_amdhsa_kernel
	.section	.text._ZN9rocsparseL29bsrmmnt_small_blockdim_kernelILj64ELj64ELj2EllDF16_DF16_ffEEv20rocsparse_direction_T3_S2_llNS_24const_host_device_scalarIT7_EEPKT2_PKS2_PKT4_PKT5_llS5_PT6_ll16rocsparse_order_21rocsparse_index_base_b,"axG",@progbits,_ZN9rocsparseL29bsrmmnt_small_blockdim_kernelILj64ELj64ELj2EllDF16_DF16_ffEEv20rocsparse_direction_T3_S2_llNS_24const_host_device_scalarIT7_EEPKT2_PKS2_PKT4_PKT5_llS5_PT6_ll16rocsparse_order_21rocsparse_index_base_b,comdat
.Lfunc_end80:
	.size	_ZN9rocsparseL29bsrmmnt_small_blockdim_kernelILj64ELj64ELj2EllDF16_DF16_ffEEv20rocsparse_direction_T3_S2_llNS_24const_host_device_scalarIT7_EEPKT2_PKS2_PKT4_PKT5_llS5_PT6_ll16rocsparse_order_21rocsparse_index_base_b, .Lfunc_end80-_ZN9rocsparseL29bsrmmnt_small_blockdim_kernelILj64ELj64ELj2EllDF16_DF16_ffEEv20rocsparse_direction_T3_S2_llNS_24const_host_device_scalarIT7_EEPKT2_PKS2_PKT4_PKT5_llS5_PT6_ll16rocsparse_order_21rocsparse_index_base_b
                                        ; -- End function
	.set _ZN9rocsparseL29bsrmmnt_small_blockdim_kernelILj64ELj64ELj2EllDF16_DF16_ffEEv20rocsparse_direction_T3_S2_llNS_24const_host_device_scalarIT7_EEPKT2_PKS2_PKT4_PKT5_llS5_PT6_ll16rocsparse_order_21rocsparse_index_base_b.num_vgpr, 30
	.set _ZN9rocsparseL29bsrmmnt_small_blockdim_kernelILj64ELj64ELj2EllDF16_DF16_ffEEv20rocsparse_direction_T3_S2_llNS_24const_host_device_scalarIT7_EEPKT2_PKS2_PKT4_PKT5_llS5_PT6_ll16rocsparse_order_21rocsparse_index_base_b.num_agpr, 0
	.set _ZN9rocsparseL29bsrmmnt_small_blockdim_kernelILj64ELj64ELj2EllDF16_DF16_ffEEv20rocsparse_direction_T3_S2_llNS_24const_host_device_scalarIT7_EEPKT2_PKS2_PKT4_PKT5_llS5_PT6_ll16rocsparse_order_21rocsparse_index_base_b.numbered_sgpr, 27
	.set _ZN9rocsparseL29bsrmmnt_small_blockdim_kernelILj64ELj64ELj2EllDF16_DF16_ffEEv20rocsparse_direction_T3_S2_llNS_24const_host_device_scalarIT7_EEPKT2_PKS2_PKT4_PKT5_llS5_PT6_ll16rocsparse_order_21rocsparse_index_base_b.num_named_barrier, 0
	.set _ZN9rocsparseL29bsrmmnt_small_blockdim_kernelILj64ELj64ELj2EllDF16_DF16_ffEEv20rocsparse_direction_T3_S2_llNS_24const_host_device_scalarIT7_EEPKT2_PKS2_PKT4_PKT5_llS5_PT6_ll16rocsparse_order_21rocsparse_index_base_b.private_seg_size, 0
	.set _ZN9rocsparseL29bsrmmnt_small_blockdim_kernelILj64ELj64ELj2EllDF16_DF16_ffEEv20rocsparse_direction_T3_S2_llNS_24const_host_device_scalarIT7_EEPKT2_PKS2_PKT4_PKT5_llS5_PT6_ll16rocsparse_order_21rocsparse_index_base_b.uses_vcc, 1
	.set _ZN9rocsparseL29bsrmmnt_small_blockdim_kernelILj64ELj64ELj2EllDF16_DF16_ffEEv20rocsparse_direction_T3_S2_llNS_24const_host_device_scalarIT7_EEPKT2_PKS2_PKT4_PKT5_llS5_PT6_ll16rocsparse_order_21rocsparse_index_base_b.uses_flat_scratch, 0
	.set _ZN9rocsparseL29bsrmmnt_small_blockdim_kernelILj64ELj64ELj2EllDF16_DF16_ffEEv20rocsparse_direction_T3_S2_llNS_24const_host_device_scalarIT7_EEPKT2_PKS2_PKT4_PKT5_llS5_PT6_ll16rocsparse_order_21rocsparse_index_base_b.has_dyn_sized_stack, 0
	.set _ZN9rocsparseL29bsrmmnt_small_blockdim_kernelILj64ELj64ELj2EllDF16_DF16_ffEEv20rocsparse_direction_T3_S2_llNS_24const_host_device_scalarIT7_EEPKT2_PKS2_PKT4_PKT5_llS5_PT6_ll16rocsparse_order_21rocsparse_index_base_b.has_recursion, 0
	.set _ZN9rocsparseL29bsrmmnt_small_blockdim_kernelILj64ELj64ELj2EllDF16_DF16_ffEEv20rocsparse_direction_T3_S2_llNS_24const_host_device_scalarIT7_EEPKT2_PKS2_PKT4_PKT5_llS5_PT6_ll16rocsparse_order_21rocsparse_index_base_b.has_indirect_call, 0
	.section	.AMDGPU.csdata,"",@progbits
; Kernel info:
; codeLenInByte = 1288
; TotalNumSgprs: 29
; NumVgprs: 30
; ScratchSize: 0
; MemoryBound: 0
; FloatMode: 240
; IeeeMode: 1
; LDSByteSize: 896 bytes/workgroup (compile time only)
; SGPRBlocks: 0
; VGPRBlocks: 1
; NumSGPRsForWavesPerEU: 29
; NumVGPRsForWavesPerEU: 30
; NamedBarCnt: 0
; Occupancy: 16
; WaveLimiterHint : 1
; COMPUTE_PGM_RSRC2:SCRATCH_EN: 0
; COMPUTE_PGM_RSRC2:USER_SGPR: 2
; COMPUTE_PGM_RSRC2:TRAP_HANDLER: 0
; COMPUTE_PGM_RSRC2:TGID_X_EN: 1
; COMPUTE_PGM_RSRC2:TGID_Y_EN: 0
; COMPUTE_PGM_RSRC2:TGID_Z_EN: 0
; COMPUTE_PGM_RSRC2:TIDIG_COMP_CNT: 0
	.section	.text._ZN9rocsparseL29bsrmmnt_small_blockdim_kernelILj64ELj8ELj2EiiaaiiEEv20rocsparse_direction_T3_S2_llNS_24const_host_device_scalarIT7_EEPKT2_PKS2_PKT4_PKT5_llS5_PT6_ll16rocsparse_order_21rocsparse_index_base_b,"axG",@progbits,_ZN9rocsparseL29bsrmmnt_small_blockdim_kernelILj64ELj8ELj2EiiaaiiEEv20rocsparse_direction_T3_S2_llNS_24const_host_device_scalarIT7_EEPKT2_PKS2_PKT4_PKT5_llS5_PT6_ll16rocsparse_order_21rocsparse_index_base_b,comdat
	.globl	_ZN9rocsparseL29bsrmmnt_small_blockdim_kernelILj64ELj8ELj2EiiaaiiEEv20rocsparse_direction_T3_S2_llNS_24const_host_device_scalarIT7_EEPKT2_PKS2_PKT4_PKT5_llS5_PT6_ll16rocsparse_order_21rocsparse_index_base_b ; -- Begin function _ZN9rocsparseL29bsrmmnt_small_blockdim_kernelILj64ELj8ELj2EiiaaiiEEv20rocsparse_direction_T3_S2_llNS_24const_host_device_scalarIT7_EEPKT2_PKS2_PKT4_PKT5_llS5_PT6_ll16rocsparse_order_21rocsparse_index_base_b
	.p2align	8
	.type	_ZN9rocsparseL29bsrmmnt_small_blockdim_kernelILj64ELj8ELj2EiiaaiiEEv20rocsparse_direction_T3_S2_llNS_24const_host_device_scalarIT7_EEPKT2_PKS2_PKT4_PKT5_llS5_PT6_ll16rocsparse_order_21rocsparse_index_base_b,@function
_ZN9rocsparseL29bsrmmnt_small_blockdim_kernelILj64ELj8ELj2EiiaaiiEEv20rocsparse_direction_T3_S2_llNS_24const_host_device_scalarIT7_EEPKT2_PKS2_PKT4_PKT5_llS5_PT6_ll16rocsparse_order_21rocsparse_index_base_b: ; @_ZN9rocsparseL29bsrmmnt_small_blockdim_kernelILj64ELj8ELj2EiiaaiiEEv20rocsparse_direction_T3_S2_llNS_24const_host_device_scalarIT7_EEPKT2_PKS2_PKT4_PKT5_llS5_PT6_ll16rocsparse_order_21rocsparse_index_base_b
; %bb.0:
	s_clause 0x1
	s_load_b96 s[16:18], s[0:1], 0x78
	s_load_b64 s[4:5], s[0:1], 0x20
	s_mov_b32 s7, -1
	s_wait_kmcnt 0x0
	s_bitcmp1_b32 s18, 0
                                        ; implicit-def: $sgpr18
	s_cselect_b32 s2, -1, 0
	s_delay_alu instid0(SALU_CYCLE_1) | instskip(NEXT) | instid1(SALU_CYCLE_1)
	s_xor_b32 s6, s2, -1
	s_and_b32 vcc_lo, exec_lo, s6
	s_cbranch_vccnz .LBB81_4
; %bb.1:
	s_load_b64 s[2:3], s[0:1], 0x58
	s_and_not1_b32 vcc_lo, exec_lo, s7
	s_cbranch_vccz .LBB81_5
.LBB81_2:
	s_and_b32 vcc_lo, exec_lo, s6
	s_cbranch_vccz .LBB81_6
.LBB81_3:
	s_wait_kmcnt 0x0
	s_load_b32 s19, s[2:3], 0x0
	s_wait_xcnt 0x0
	s_cbranch_execz .LBB81_7
	s_branch .LBB81_8
.LBB81_4:
	s_load_b32 s18, s[4:5], 0x0
	s_load_b64 s[2:3], s[0:1], 0x58
	s_cbranch_execnz .LBB81_2
.LBB81_5:
	s_wait_kmcnt 0x0
	s_mov_b32 s18, s4
	s_and_b32 vcc_lo, exec_lo, s6
	s_cbranch_vccnz .LBB81_3
.LBB81_6:
	s_wait_kmcnt 0x0
                                        ; implicit-def: $sgpr19
.LBB81_7:
	s_wait_kmcnt 0x0
	s_mov_b32 s19, s2
.LBB81_8:
	s_cmp_eq_u32 s18, 0
	s_cselect_b32 s2, -1, 0
	s_wait_kmcnt 0x0
	s_cmp_eq_u32 s19, 1
	s_cselect_b32 s3, -1, 0
	s_delay_alu instid0(SALU_CYCLE_1) | instskip(NEXT) | instid1(SALU_CYCLE_1)
	s_and_b32 s2, s2, s3
	s_and_b32 vcc_lo, exec_lo, s2
	s_cbranch_vccnz .LBB81_35
; %bb.9:
	s_clause 0x1
	s_load_b32 s2, s[0:1], 0x94
	s_load_b96 s[20:22], s[0:1], 0x0
	s_bfe_u32 s3, ttmp6, 0x4000c
	s_and_b32 s4, ttmp6, 15
	s_add_co_i32 s3, s3, 1
	s_getreg_b32 s5, hwreg(HW_REG_IB_STS2, 6, 4)
	s_mul_i32 s3, ttmp9, s3
	s_delay_alu instid0(SALU_CYCLE_1) | instskip(SKIP_4) | instid1(SALU_CYCLE_1)
	s_add_co_i32 s4, s4, s3
	s_wait_kmcnt 0x0
	s_and_b32 s2, s2, 0xffff
	s_cmp_eq_u32 s5, 0
	s_cselect_b32 s3, ttmp9, s4
	v_mad_u32 v1, s3, s2, v0
	s_mov_b32 s2, exec_lo
	s_delay_alu instid0(VALU_DEP_1) | instskip(NEXT) | instid1(VALU_DEP_1)
	v_lshrrev_b32_e32 v2, 4, v1
	v_cmpx_gt_i32_e64 s21, v2
	s_cbranch_execz .LBB81_35
; %bb.10:
	s_cmp_lt_i32 s22, 1
	s_cbranch_scc1 .LBB81_35
; %bb.11:
	s_load_b256 s[4:11], s[0:1], 0x28
	v_dual_mov_b32 v3, 0 :: v_dual_lshlrev_b32 v2, 2, v2
	s_clause 0x1
	s_load_b128 s[12:15], s[0:1], 0x60
	s_load_b64 s[2:3], s[0:1], 0x48
	s_cmp_eq_u32 s20, 0
	v_dual_lshrrev_b32 v10, 3, v0 :: v_dual_bitop2_b32 v8, 7, v0 bitop3:0x40
	s_cselect_b32 vcc_lo, -1, 0
	s_cmp_lg_u32 s19, 0
	s_delay_alu instid0(VALU_DEP_1) | instskip(SKIP_2) | instid1(VALU_DEP_3)
	v_mul_u32_u24_e32 v11, 24, v10
	v_lshlrev_b32_e32 v9, 5, v10
	v_mul_u32_u24_e32 v16, 3, v8
	v_or_b32_e32 v11, 0x100, v11
	s_delay_alu instid0(VALU_DEP_3)
	v_lshl_or_b32 v10, v8, 2, v9
	s_wait_kmcnt 0x0
	global_load_b64 v[4:5], v2, s[4:5]
	s_wait_xcnt 0x0
	v_lshrrev_b32_e32 v2, 3, v1
	v_bfe_u32 v1, v1, 3, 1
	s_cselect_b32 s5, -1, 0
	s_cmp_lg_u32 s16, 1
	s_mov_b32 s4, 0
	v_mul_u64_e32 v[6:7], s[14:15], v[2:3]
	v_dual_lshlrev_b32 v12, 1, v1 :: v_dual_bitop2_b32 v0, 2, v1 bitop3:0x54
	v_lshlrev_b32_e32 v2, 2, v2
	s_mov_b32 s16, s3
	v_add_nc_u32_e32 v16, v11, v16
	s_delay_alu instid0(VALU_DEP_3) | instskip(NEXT) | instid1(VALU_DEP_1)
	v_dual_cndmask_b32 v12, v1, v12, vcc_lo :: v_dual_bitop2_b32 v13, 1, v12 bitop3:0x54
	v_cndmask_b32_e32 v13, v0, v13, vcc_lo
	v_add_nc_u64_e32 v[0:1], s[12:13], v[2:3]
	v_lshl_add_u64 v[2:3], v[6:7], 2, s[12:13]
	s_cselect_b32 s12, -1, 0
	s_mov_b32 s13, s2
	s_wait_loadcnt 0x0
	v_subrev_nc_u32_e32 v14, s17, v4
	v_subrev_nc_u32_e32 v15, s17, v5
	v_cmp_lt_i32_e64 s0, v4, v5
	s_branch .LBB81_13
.LBB81_12:                              ;   in Loop: Header=BB81_13 Depth=1
	s_wait_xcnt 0x0
	s_or_b32 exec_lo, exec_lo, s1
	s_add_co_i32 s4, s4, 8
	s_delay_alu instid0(SALU_CYCLE_1)
	s_cmp_lt_i32 s4, s22
	s_cbranch_scc0 .LBB81_35
.LBB81_13:                              ; =>This Loop Header: Depth=1
                                        ;     Child Loop BB81_16 Depth 2
                                        ;       Child Loop BB81_20 Depth 3
	v_dual_mov_b32 v17, 0 :: v_dual_bitop2_b32 v4, s4, v8 bitop3:0x54
	s_delay_alu instid0(VALU_DEP_1) | instskip(NEXT) | instid1(VALU_DEP_3)
	v_ashrrev_i32_e32 v5, 31, v4
	s_and_saveexec_b32 s20, s0
	s_cbranch_execz .LBB81_23
; %bb.14:                               ;   in Loop: Header=BB81_13 Depth=1
	s_delay_alu instid0(VALU_DEP_1)
	v_add_nc_u64_e32 v[6:7], s[10:11], v[4:5]
	v_dual_mov_b32 v17, 0 :: v_dual_mov_b32 v18, v14
	s_mov_b32 s21, 0
	v_cmp_gt_i32_e32 vcc_lo, s22, v4
	s_branch .LBB81_16
.LBB81_15:                              ;   in Loop: Header=BB81_16 Depth=2
	s_wait_xcnt 0x0
	s_or_b32 exec_lo, exec_lo, s1
	v_add_nc_u32_e32 v18, 8, v18
	s_delay_alu instid0(VALU_DEP_1) | instskip(SKIP_1) | instid1(SALU_CYCLE_1)
	v_cmp_ge_i32_e64 s1, v18, v15
	s_or_b32 s21, s1, s21
	s_and_not1_b32 exec_lo, exec_lo, s21
	s_cbranch_execz .LBB81_22
.LBB81_16:                              ;   Parent Loop BB81_13 Depth=1
                                        ; =>  This Loop Header: Depth=2
                                        ;       Child Loop BB81_20 Depth 3
	s_delay_alu instid0(VALU_DEP_2) | instskip(SKIP_2) | instid1(VALU_DEP_2)
	v_dual_mov_b32 v21, 0 :: v_dual_add_nc_u32 v22, v18, v8
	v_dual_mov_b32 v19, 0 :: v_dual_mov_b32 v20, 0
	s_mov_b32 s23, exec_lo
	v_cmpx_lt_i32_e64 v22, v15
	s_cbranch_execz .LBB81_18
; %bb.17:                               ;   in Loop: Header=BB81_16 Depth=2
	global_load_b32 v21, v22, s[6:7] scale_offset
	s_wait_loadcnt 0x0
	v_subrev_nc_u32_e32 v21, s17, v21
	s_delay_alu instid0(VALU_DEP_1) | instskip(SKIP_1) | instid1(VALU_DEP_1)
	v_dual_lshlrev_b32 v19, 2, v22 :: v_dual_lshlrev_b32 v21, 1, v21
	s_wait_xcnt 0x0
	v_or_b32_e32 v22, v19, v12
	v_or_b32_e32 v23, v19, v13
	s_clause 0x1
	global_load_u8 v19, v22, s[8:9]
	global_load_u8 v20, v23, s[8:9]
.LBB81_18:                              ;   in Loop: Header=BB81_16 Depth=2
	s_wait_xcnt 0x0
	s_or_b32 exec_lo, exec_lo, s23
	ds_store_b32 v10, v21
	s_wait_loadcnt 0x1
	ds_store_b8 v16, v19
	s_wait_loadcnt 0x0
	ds_store_b8 v16, v20 offset:1
	s_wait_dscnt 0x0
	s_barrier_signal -1
	s_barrier_wait -1
	s_and_saveexec_b32 s1, vcc_lo
	s_cbranch_execz .LBB81_15
; %bb.19:                               ;   in Loop: Header=BB81_16 Depth=2
	v_mov_b32_e32 v19, 0
	s_mov_b32 s23, 1
	s_mov_b32 s24, 0
	;; [unrolled: 1-line block ×3, first 2 shown]
.LBB81_20:                              ;   Parent Loop BB81_13 Depth=1
                                        ;     Parent Loop BB81_16 Depth=2
                                        ; =>    This Inner Loop Header: Depth=3
	v_add_nc_u32_e32 v20, s24, v9
	v_mad_u32 v22, s25, 3, v11
	v_mad_u32 v23, s23, 3, v11
	s_add_co_i32 s24, s24, 8
	s_add_co_i32 s25, s25, 2
	ds_load_b64 v[20:21], v20
	s_add_co_i32 s23, s23, 2
	s_cmp_lg_u32 s24, 32
	ds_load_u16 v30, v22
	ds_load_i8 v31, v23
	ds_load_i8 v32, v23 offset:1
	s_wait_dscnt 0x3
	v_dual_add_nc_u32 v33, 1, v21 :: v_dual_add_nc_u32 v34, 1, v20
	v_mad_nc_u64_u32 v[22:23], s2, v20, v[6:7]
	s_wait_xcnt 0x2
	v_mad_nc_u64_u32 v[24:25], s13, v21, v[6:7]
	s_wait_xcnt 0x1
	;; [unrolled: 2-line block ×3, first 2 shown]
	v_mad_nc_u64_u32 v[28:29], s2, v34, v[6:7]
	s_delay_alu instid0(VALU_DEP_4) | instskip(NEXT) | instid1(VALU_DEP_4)
	v_mad_u32 v23, s3, v20, v23
	v_mad_u32 v25, s16, v21, v25
	v_dual_ashrrev_i32 v20, 31, v20 :: v_dual_ashrrev_i32 v21, 31, v21
	v_mad_u32 v27, s16, v33, v27
	v_mad_u32 v29, s3, v34, v29
	v_dual_ashrrev_i32 v33, 31, v33 :: v_dual_ashrrev_i32 v34, 31, v34
	s_delay_alu instid0(VALU_DEP_4) | instskip(SKIP_1) | instid1(VALU_DEP_3)
	v_mad_u32 v23, s2, v20, v23
	v_mad_u32 v25, s13, v21, v25
	;; [unrolled: 1-line block ×3, first 2 shown]
	s_delay_alu instid0(VALU_DEP_4)
	v_mad_u32 v29, s2, v34, v29
	s_clause 0x3
	global_load_i8 v20, v[22:23], off
	global_load_i8 v21, v[24:25], off
	;; [unrolled: 1-line block ×4, first 2 shown]
	s_wait_dscnt 0x0
	s_wait_xcnt 0x3
	v_perm_b32 v22, v32, v31, 0xc0c0400
	v_perm_b32 v23, v30, v30, 0xc0c0100
	s_wait_loadcnt 0x1
	v_perm_b32 v21, v33, v21, 0xc0c0400
	s_wait_loadcnt 0x0
	v_perm_b32 v20, v34, v20, 0xc0c0400
	s_delay_alu instid0(VALU_DEP_2) | instskip(NEXT) | instid1(VALU_DEP_2)
	v_dot4_i32_iu8 v19, v22, v21, v19 neg_lo:[1,1,0]
	v_dot4_i32_iu8 v17, v23, v20, v17 neg_lo:[1,1,0]
	s_cbranch_scc1 .LBB81_20
; %bb.21:                               ;   in Loop: Header=BB81_16 Depth=2
	s_delay_alu instid0(VALU_DEP_1)
	v_add_nc_u32_e32 v17, v17, v19
	s_branch .LBB81_15
.LBB81_22:                              ;   in Loop: Header=BB81_13 Depth=1
	s_or_b32 exec_lo, exec_lo, s21
.LBB81_23:                              ;   in Loop: Header=BB81_13 Depth=1
	s_delay_alu instid0(SALU_CYCLE_1) | instskip(NEXT) | instid1(SALU_CYCLE_1)
	s_or_b32 exec_lo, exec_lo, s20
	s_mov_b32 s1, exec_lo
	v_cmpx_gt_i32_e64 s22, v4
	s_cbranch_execz .LBB81_12
; %bb.24:                               ;   in Loop: Header=BB81_13 Depth=1
	s_and_b32 vcc_lo, exec_lo, s5
	s_cbranch_vccz .LBB81_30
; %bb.25:                               ;   in Loop: Header=BB81_13 Depth=1
	s_and_b32 vcc_lo, exec_lo, s12
	s_mov_b32 s20, -1
	s_cbranch_vccz .LBB81_27
; %bb.26:                               ;   in Loop: Header=BB81_13 Depth=1
	v_lshl_add_u64 v[6:7], v[4:5], 2, v[2:3]
	v_mul_lo_u32 v19, v17, s18
	s_mov_b32 s20, 0
	global_load_b32 v18, v[6:7], off
	s_wait_loadcnt 0x0
	v_mad_u32 v18, v18, s19, v19
	global_store_b32 v[6:7], v18, off
.LBB81_27:                              ;   in Loop: Header=BB81_13 Depth=1
	s_and_not1_b32 vcc_lo, exec_lo, s20
	s_cbranch_vccnz .LBB81_29
; %bb.28:                               ;   in Loop: Header=BB81_13 Depth=1
	s_wait_xcnt 0x0
	v_mul_u64_e32 v[6:7], s[14:15], v[4:5]
	v_mul_lo_u32 v19, v17, s18
	s_delay_alu instid0(VALU_DEP_2)
	v_lshl_add_u64 v[6:7], v[6:7], 2, v[0:1]
	global_load_b32 v18, v[6:7], off
	s_wait_loadcnt 0x0
	v_mad_u32 v18, v18, s19, v19
	global_store_b32 v[6:7], v18, off
.LBB81_29:                              ;   in Loop: Header=BB81_13 Depth=1
	s_cbranch_execnz .LBB81_12
	s_branch .LBB81_31
.LBB81_30:                              ;   in Loop: Header=BB81_13 Depth=1
.LBB81_31:                              ;   in Loop: Header=BB81_13 Depth=1
	s_wait_xcnt 0x0
	v_mul_lo_u32 v6, v17, s18
	s_and_b32 vcc_lo, exec_lo, s12
	s_mov_b32 s20, -1
	s_cbranch_vccz .LBB81_33
; %bb.32:                               ;   in Loop: Header=BB81_13 Depth=1
	v_lshl_add_u64 v[18:19], v[4:5], 2, v[2:3]
	s_mov_b32 s20, 0
	global_store_b32 v[18:19], v6, off
.LBB81_33:                              ;   in Loop: Header=BB81_13 Depth=1
	s_and_not1_b32 vcc_lo, exec_lo, s20
	s_cbranch_vccnz .LBB81_12
; %bb.34:                               ;   in Loop: Header=BB81_13 Depth=1
	v_mul_u64_e32 v[4:5], s[14:15], v[4:5]
	s_delay_alu instid0(VALU_DEP_1)
	v_lshl_add_u64 v[4:5], v[4:5], 2, v[0:1]
	global_store_b32 v[4:5], v6, off
	s_branch .LBB81_12
.LBB81_35:
	s_endpgm
	.section	.rodata,"a",@progbits
	.p2align	6, 0x0
	.amdhsa_kernel _ZN9rocsparseL29bsrmmnt_small_blockdim_kernelILj64ELj8ELj2EiiaaiiEEv20rocsparse_direction_T3_S2_llNS_24const_host_device_scalarIT7_EEPKT2_PKS2_PKT4_PKT5_llS5_PT6_ll16rocsparse_order_21rocsparse_index_base_b
		.amdhsa_group_segment_fixed_size 448
		.amdhsa_private_segment_fixed_size 0
		.amdhsa_kernarg_size 392
		.amdhsa_user_sgpr_count 2
		.amdhsa_user_sgpr_dispatch_ptr 0
		.amdhsa_user_sgpr_queue_ptr 0
		.amdhsa_user_sgpr_kernarg_segment_ptr 1
		.amdhsa_user_sgpr_dispatch_id 0
		.amdhsa_user_sgpr_kernarg_preload_length 0
		.amdhsa_user_sgpr_kernarg_preload_offset 0
		.amdhsa_user_sgpr_private_segment_size 0
		.amdhsa_wavefront_size32 1
		.amdhsa_uses_dynamic_stack 0
		.amdhsa_enable_private_segment 0
		.amdhsa_system_sgpr_workgroup_id_x 1
		.amdhsa_system_sgpr_workgroup_id_y 0
		.amdhsa_system_sgpr_workgroup_id_z 0
		.amdhsa_system_sgpr_workgroup_info 0
		.amdhsa_system_vgpr_workitem_id 0
		.amdhsa_next_free_vgpr 35
		.amdhsa_next_free_sgpr 26
		.amdhsa_named_barrier_count 0
		.amdhsa_reserve_vcc 1
		.amdhsa_float_round_mode_32 0
		.amdhsa_float_round_mode_16_64 0
		.amdhsa_float_denorm_mode_32 3
		.amdhsa_float_denorm_mode_16_64 3
		.amdhsa_fp16_overflow 0
		.amdhsa_memory_ordered 1
		.amdhsa_forward_progress 1
		.amdhsa_inst_pref_size 12
		.amdhsa_round_robin_scheduling 0
		.amdhsa_exception_fp_ieee_invalid_op 0
		.amdhsa_exception_fp_denorm_src 0
		.amdhsa_exception_fp_ieee_div_zero 0
		.amdhsa_exception_fp_ieee_overflow 0
		.amdhsa_exception_fp_ieee_underflow 0
		.amdhsa_exception_fp_ieee_inexact 0
		.amdhsa_exception_int_div_zero 0
	.end_amdhsa_kernel
	.section	.text._ZN9rocsparseL29bsrmmnt_small_blockdim_kernelILj64ELj8ELj2EiiaaiiEEv20rocsparse_direction_T3_S2_llNS_24const_host_device_scalarIT7_EEPKT2_PKS2_PKT4_PKT5_llS5_PT6_ll16rocsparse_order_21rocsparse_index_base_b,"axG",@progbits,_ZN9rocsparseL29bsrmmnt_small_blockdim_kernelILj64ELj8ELj2EiiaaiiEEv20rocsparse_direction_T3_S2_llNS_24const_host_device_scalarIT7_EEPKT2_PKS2_PKT4_PKT5_llS5_PT6_ll16rocsparse_order_21rocsparse_index_base_b,comdat
.Lfunc_end81:
	.size	_ZN9rocsparseL29bsrmmnt_small_blockdim_kernelILj64ELj8ELj2EiiaaiiEEv20rocsparse_direction_T3_S2_llNS_24const_host_device_scalarIT7_EEPKT2_PKS2_PKT4_PKT5_llS5_PT6_ll16rocsparse_order_21rocsparse_index_base_b, .Lfunc_end81-_ZN9rocsparseL29bsrmmnt_small_blockdim_kernelILj64ELj8ELj2EiiaaiiEEv20rocsparse_direction_T3_S2_llNS_24const_host_device_scalarIT7_EEPKT2_PKS2_PKT4_PKT5_llS5_PT6_ll16rocsparse_order_21rocsparse_index_base_b
                                        ; -- End function
	.set _ZN9rocsparseL29bsrmmnt_small_blockdim_kernelILj64ELj8ELj2EiiaaiiEEv20rocsparse_direction_T3_S2_llNS_24const_host_device_scalarIT7_EEPKT2_PKS2_PKT4_PKT5_llS5_PT6_ll16rocsparse_order_21rocsparse_index_base_b.num_vgpr, 35
	.set _ZN9rocsparseL29bsrmmnt_small_blockdim_kernelILj64ELj8ELj2EiiaaiiEEv20rocsparse_direction_T3_S2_llNS_24const_host_device_scalarIT7_EEPKT2_PKS2_PKT4_PKT5_llS5_PT6_ll16rocsparse_order_21rocsparse_index_base_b.num_agpr, 0
	.set _ZN9rocsparseL29bsrmmnt_small_blockdim_kernelILj64ELj8ELj2EiiaaiiEEv20rocsparse_direction_T3_S2_llNS_24const_host_device_scalarIT7_EEPKT2_PKS2_PKT4_PKT5_llS5_PT6_ll16rocsparse_order_21rocsparse_index_base_b.numbered_sgpr, 26
	.set _ZN9rocsparseL29bsrmmnt_small_blockdim_kernelILj64ELj8ELj2EiiaaiiEEv20rocsparse_direction_T3_S2_llNS_24const_host_device_scalarIT7_EEPKT2_PKS2_PKT4_PKT5_llS5_PT6_ll16rocsparse_order_21rocsparse_index_base_b.num_named_barrier, 0
	.set _ZN9rocsparseL29bsrmmnt_small_blockdim_kernelILj64ELj8ELj2EiiaaiiEEv20rocsparse_direction_T3_S2_llNS_24const_host_device_scalarIT7_EEPKT2_PKS2_PKT4_PKT5_llS5_PT6_ll16rocsparse_order_21rocsparse_index_base_b.private_seg_size, 0
	.set _ZN9rocsparseL29bsrmmnt_small_blockdim_kernelILj64ELj8ELj2EiiaaiiEEv20rocsparse_direction_T3_S2_llNS_24const_host_device_scalarIT7_EEPKT2_PKS2_PKT4_PKT5_llS5_PT6_ll16rocsparse_order_21rocsparse_index_base_b.uses_vcc, 1
	.set _ZN9rocsparseL29bsrmmnt_small_blockdim_kernelILj64ELj8ELj2EiiaaiiEEv20rocsparse_direction_T3_S2_llNS_24const_host_device_scalarIT7_EEPKT2_PKS2_PKT4_PKT5_llS5_PT6_ll16rocsparse_order_21rocsparse_index_base_b.uses_flat_scratch, 0
	.set _ZN9rocsparseL29bsrmmnt_small_blockdim_kernelILj64ELj8ELj2EiiaaiiEEv20rocsparse_direction_T3_S2_llNS_24const_host_device_scalarIT7_EEPKT2_PKS2_PKT4_PKT5_llS5_PT6_ll16rocsparse_order_21rocsparse_index_base_b.has_dyn_sized_stack, 0
	.set _ZN9rocsparseL29bsrmmnt_small_blockdim_kernelILj64ELj8ELj2EiiaaiiEEv20rocsparse_direction_T3_S2_llNS_24const_host_device_scalarIT7_EEPKT2_PKS2_PKT4_PKT5_llS5_PT6_ll16rocsparse_order_21rocsparse_index_base_b.has_recursion, 0
	.set _ZN9rocsparseL29bsrmmnt_small_blockdim_kernelILj64ELj8ELj2EiiaaiiEEv20rocsparse_direction_T3_S2_llNS_24const_host_device_scalarIT7_EEPKT2_PKS2_PKT4_PKT5_llS5_PT6_ll16rocsparse_order_21rocsparse_index_base_b.has_indirect_call, 0
	.section	.AMDGPU.csdata,"",@progbits
; Kernel info:
; codeLenInByte = 1488
; TotalNumSgprs: 28
; NumVgprs: 35
; ScratchSize: 0
; MemoryBound: 0
; FloatMode: 240
; IeeeMode: 1
; LDSByteSize: 448 bytes/workgroup (compile time only)
; SGPRBlocks: 0
; VGPRBlocks: 2
; NumSGPRsForWavesPerEU: 28
; NumVGPRsForWavesPerEU: 35
; NamedBarCnt: 0
; Occupancy: 16
; WaveLimiterHint : 0
; COMPUTE_PGM_RSRC2:SCRATCH_EN: 0
; COMPUTE_PGM_RSRC2:USER_SGPR: 2
; COMPUTE_PGM_RSRC2:TRAP_HANDLER: 0
; COMPUTE_PGM_RSRC2:TGID_X_EN: 1
; COMPUTE_PGM_RSRC2:TGID_Y_EN: 0
; COMPUTE_PGM_RSRC2:TGID_Z_EN: 0
; COMPUTE_PGM_RSRC2:TIDIG_COMP_CNT: 0
	.section	.text._ZN9rocsparseL29bsrmmnt_small_blockdim_kernelILj64ELj16ELj2EiiaaiiEEv20rocsparse_direction_T3_S2_llNS_24const_host_device_scalarIT7_EEPKT2_PKS2_PKT4_PKT5_llS5_PT6_ll16rocsparse_order_21rocsparse_index_base_b,"axG",@progbits,_ZN9rocsparseL29bsrmmnt_small_blockdim_kernelILj64ELj16ELj2EiiaaiiEEv20rocsparse_direction_T3_S2_llNS_24const_host_device_scalarIT7_EEPKT2_PKS2_PKT4_PKT5_llS5_PT6_ll16rocsparse_order_21rocsparse_index_base_b,comdat
	.globl	_ZN9rocsparseL29bsrmmnt_small_blockdim_kernelILj64ELj16ELj2EiiaaiiEEv20rocsparse_direction_T3_S2_llNS_24const_host_device_scalarIT7_EEPKT2_PKS2_PKT4_PKT5_llS5_PT6_ll16rocsparse_order_21rocsparse_index_base_b ; -- Begin function _ZN9rocsparseL29bsrmmnt_small_blockdim_kernelILj64ELj16ELj2EiiaaiiEEv20rocsparse_direction_T3_S2_llNS_24const_host_device_scalarIT7_EEPKT2_PKS2_PKT4_PKT5_llS5_PT6_ll16rocsparse_order_21rocsparse_index_base_b
	.p2align	8
	.type	_ZN9rocsparseL29bsrmmnt_small_blockdim_kernelILj64ELj16ELj2EiiaaiiEEv20rocsparse_direction_T3_S2_llNS_24const_host_device_scalarIT7_EEPKT2_PKS2_PKT4_PKT5_llS5_PT6_ll16rocsparse_order_21rocsparse_index_base_b,@function
_ZN9rocsparseL29bsrmmnt_small_blockdim_kernelILj64ELj16ELj2EiiaaiiEEv20rocsparse_direction_T3_S2_llNS_24const_host_device_scalarIT7_EEPKT2_PKS2_PKT4_PKT5_llS5_PT6_ll16rocsparse_order_21rocsparse_index_base_b: ; @_ZN9rocsparseL29bsrmmnt_small_blockdim_kernelILj64ELj16ELj2EiiaaiiEEv20rocsparse_direction_T3_S2_llNS_24const_host_device_scalarIT7_EEPKT2_PKS2_PKT4_PKT5_llS5_PT6_ll16rocsparse_order_21rocsparse_index_base_b
; %bb.0:
	s_clause 0x1
	s_load_b96 s[16:18], s[0:1], 0x78
	s_load_b64 s[4:5], s[0:1], 0x20
	s_mov_b32 s7, -1
	s_wait_kmcnt 0x0
	s_bitcmp1_b32 s18, 0
                                        ; implicit-def: $sgpr18
	s_cselect_b32 s2, -1, 0
	s_delay_alu instid0(SALU_CYCLE_1) | instskip(NEXT) | instid1(SALU_CYCLE_1)
	s_xor_b32 s6, s2, -1
	s_and_b32 vcc_lo, exec_lo, s6
	s_cbranch_vccnz .LBB82_4
; %bb.1:
	s_load_b64 s[2:3], s[0:1], 0x58
	s_and_not1_b32 vcc_lo, exec_lo, s7
	s_cbranch_vccz .LBB82_5
.LBB82_2:
	s_and_b32 vcc_lo, exec_lo, s6
	s_cbranch_vccz .LBB82_6
.LBB82_3:
	s_wait_kmcnt 0x0
	s_load_b32 s19, s[2:3], 0x0
	s_wait_xcnt 0x0
	s_cbranch_execz .LBB82_7
	s_branch .LBB82_8
.LBB82_4:
	s_load_b32 s18, s[4:5], 0x0
	s_load_b64 s[2:3], s[0:1], 0x58
	s_cbranch_execnz .LBB82_2
.LBB82_5:
	s_wait_kmcnt 0x0
	s_mov_b32 s18, s4
	s_and_b32 vcc_lo, exec_lo, s6
	s_cbranch_vccnz .LBB82_3
.LBB82_6:
	s_wait_kmcnt 0x0
                                        ; implicit-def: $sgpr19
.LBB82_7:
	s_wait_kmcnt 0x0
	s_mov_b32 s19, s2
.LBB82_8:
	s_cmp_eq_u32 s18, 0
	s_cselect_b32 s2, -1, 0
	s_wait_kmcnt 0x0
	s_cmp_eq_u32 s19, 1
	s_cselect_b32 s3, -1, 0
	s_delay_alu instid0(SALU_CYCLE_1) | instskip(NEXT) | instid1(SALU_CYCLE_1)
	s_and_b32 s2, s2, s3
	s_and_b32 vcc_lo, exec_lo, s2
	s_cbranch_vccnz .LBB82_35
; %bb.9:
	s_clause 0x1
	s_load_b32 s2, s[0:1], 0x94
	s_load_b96 s[20:22], s[0:1], 0x0
	s_bfe_u32 s3, ttmp6, 0x4000c
	s_and_b32 s4, ttmp6, 15
	s_add_co_i32 s3, s3, 1
	s_getreg_b32 s5, hwreg(HW_REG_IB_STS2, 6, 4)
	s_mul_i32 s3, ttmp9, s3
	s_delay_alu instid0(SALU_CYCLE_1) | instskip(SKIP_4) | instid1(SALU_CYCLE_1)
	s_add_co_i32 s4, s4, s3
	s_wait_kmcnt 0x0
	s_and_b32 s2, s2, 0xffff
	s_cmp_eq_u32 s5, 0
	s_cselect_b32 s3, ttmp9, s4
	v_mad_u32 v1, s3, s2, v0
	s_mov_b32 s2, exec_lo
	s_delay_alu instid0(VALU_DEP_1) | instskip(NEXT) | instid1(VALU_DEP_1)
	v_lshrrev_b32_e32 v2, 5, v1
	v_cmpx_gt_i32_e64 s21, v2
	s_cbranch_execz .LBB82_35
; %bb.10:
	s_cmp_lt_i32 s22, 1
	s_cbranch_scc1 .LBB82_35
; %bb.11:
	s_load_b256 s[4:11], s[0:1], 0x28
	v_dual_mov_b32 v3, 0 :: v_dual_lshlrev_b32 v2, 2, v2
	s_clause 0x1
	s_load_b128 s[12:15], s[0:1], 0x60
	s_load_b64 s[2:3], s[0:1], 0x48
	s_cmp_eq_u32 s20, 0
	v_dual_lshrrev_b32 v10, 4, v0 :: v_dual_bitop2_b32 v8, 15, v0 bitop3:0x40
	s_cselect_b32 vcc_lo, -1, 0
	s_cmp_lg_u32 s19, 0
	s_delay_alu instid0(VALU_DEP_1) | instskip(SKIP_2) | instid1(VALU_DEP_3)
	v_mul_u32_u24_e32 v11, 48, v10
	v_lshlrev_b32_e32 v9, 6, v10
	v_mul_u32_u24_e32 v16, 3, v8
	v_or_b32_e32 v11, 0x100, v11
	s_delay_alu instid0(VALU_DEP_3)
	v_lshl_or_b32 v10, v8, 2, v9
	s_wait_kmcnt 0x0
	global_load_b64 v[4:5], v2, s[4:5]
	s_wait_xcnt 0x0
	v_lshrrev_b32_e32 v2, 4, v1
	v_bfe_u32 v1, v1, 4, 1
	s_cselect_b32 s5, -1, 0
	s_cmp_lg_u32 s16, 1
	s_mov_b32 s4, 0
	v_mul_u64_e32 v[6:7], s[14:15], v[2:3]
	v_dual_lshlrev_b32 v12, 1, v1 :: v_dual_bitop2_b32 v0, 2, v1 bitop3:0x54
	v_lshlrev_b32_e32 v2, 2, v2
	s_mov_b32 s16, s3
	v_add_nc_u32_e32 v16, v11, v16
	s_delay_alu instid0(VALU_DEP_3) | instskip(NEXT) | instid1(VALU_DEP_1)
	v_dual_cndmask_b32 v12, v1, v12, vcc_lo :: v_dual_bitop2_b32 v13, 1, v12 bitop3:0x54
	v_cndmask_b32_e32 v13, v0, v13, vcc_lo
	v_add_nc_u64_e32 v[0:1], s[12:13], v[2:3]
	v_lshl_add_u64 v[2:3], v[6:7], 2, s[12:13]
	s_cselect_b32 s12, -1, 0
	s_mov_b32 s13, s2
	s_wait_loadcnt 0x0
	v_subrev_nc_u32_e32 v14, s17, v4
	v_subrev_nc_u32_e32 v15, s17, v5
	v_cmp_lt_i32_e64 s0, v4, v5
	s_branch .LBB82_13
.LBB82_12:                              ;   in Loop: Header=BB82_13 Depth=1
	s_wait_xcnt 0x0
	s_or_b32 exec_lo, exec_lo, s1
	s_add_co_i32 s4, s4, 16
	s_delay_alu instid0(SALU_CYCLE_1)
	s_cmp_lt_i32 s4, s22
	s_cbranch_scc0 .LBB82_35
.LBB82_13:                              ; =>This Loop Header: Depth=1
                                        ;     Child Loop BB82_16 Depth 2
                                        ;       Child Loop BB82_20 Depth 3
	v_dual_mov_b32 v17, 0 :: v_dual_bitop2_b32 v4, s4, v8 bitop3:0x54
	s_delay_alu instid0(VALU_DEP_1) | instskip(NEXT) | instid1(VALU_DEP_3)
	v_ashrrev_i32_e32 v5, 31, v4
	s_and_saveexec_b32 s20, s0
	s_cbranch_execz .LBB82_23
; %bb.14:                               ;   in Loop: Header=BB82_13 Depth=1
	s_delay_alu instid0(VALU_DEP_1)
	v_add_nc_u64_e32 v[6:7], s[10:11], v[4:5]
	v_dual_mov_b32 v17, 0 :: v_dual_mov_b32 v18, v14
	s_mov_b32 s21, 0
	v_cmp_gt_i32_e32 vcc_lo, s22, v4
	s_branch .LBB82_16
.LBB82_15:                              ;   in Loop: Header=BB82_16 Depth=2
	s_wait_xcnt 0x0
	s_or_b32 exec_lo, exec_lo, s1
	v_add_nc_u32_e32 v18, 16, v18
	s_delay_alu instid0(VALU_DEP_1) | instskip(SKIP_1) | instid1(SALU_CYCLE_1)
	v_cmp_ge_i32_e64 s1, v18, v15
	s_or_b32 s21, s1, s21
	s_and_not1_b32 exec_lo, exec_lo, s21
	s_cbranch_execz .LBB82_22
.LBB82_16:                              ;   Parent Loop BB82_13 Depth=1
                                        ; =>  This Loop Header: Depth=2
                                        ;       Child Loop BB82_20 Depth 3
	s_delay_alu instid0(VALU_DEP_2) | instskip(SKIP_2) | instid1(VALU_DEP_2)
	v_dual_mov_b32 v21, 0 :: v_dual_add_nc_u32 v22, v18, v8
	v_dual_mov_b32 v19, 0 :: v_dual_mov_b32 v20, 0
	s_mov_b32 s23, exec_lo
	v_cmpx_lt_i32_e64 v22, v15
	s_cbranch_execz .LBB82_18
; %bb.17:                               ;   in Loop: Header=BB82_16 Depth=2
	global_load_b32 v21, v22, s[6:7] scale_offset
	s_wait_loadcnt 0x0
	v_subrev_nc_u32_e32 v21, s17, v21
	s_delay_alu instid0(VALU_DEP_1) | instskip(SKIP_1) | instid1(VALU_DEP_1)
	v_dual_lshlrev_b32 v19, 2, v22 :: v_dual_lshlrev_b32 v21, 1, v21
	s_wait_xcnt 0x0
	v_or_b32_e32 v22, v19, v12
	v_or_b32_e32 v23, v19, v13
	s_clause 0x1
	global_load_u8 v19, v22, s[8:9]
	global_load_u8 v20, v23, s[8:9]
.LBB82_18:                              ;   in Loop: Header=BB82_16 Depth=2
	s_wait_xcnt 0x0
	s_or_b32 exec_lo, exec_lo, s23
	ds_store_b32 v10, v21
	s_wait_loadcnt 0x1
	ds_store_b8 v16, v19
	s_wait_loadcnt 0x0
	ds_store_b8 v16, v20 offset:1
	s_wait_dscnt 0x0
	s_barrier_signal -1
	s_barrier_wait -1
	s_and_saveexec_b32 s1, vcc_lo
	s_cbranch_execz .LBB82_15
; %bb.19:                               ;   in Loop: Header=BB82_16 Depth=2
	v_mov_b32_e32 v19, 0
	s_mov_b32 s23, 1
	s_mov_b32 s24, 0
	;; [unrolled: 1-line block ×3, first 2 shown]
.LBB82_20:                              ;   Parent Loop BB82_13 Depth=1
                                        ;     Parent Loop BB82_16 Depth=2
                                        ; =>    This Inner Loop Header: Depth=3
	v_add_nc_u32_e32 v20, s24, v9
	v_mad_u32 v22, s25, 3, v11
	v_mad_u32 v23, s23, 3, v11
	s_add_co_i32 s24, s24, 8
	s_add_co_i32 s25, s25, 2
	ds_load_b64 v[20:21], v20
	s_add_co_i32 s23, s23, 2
	s_cmp_lg_u32 s24, 64
	ds_load_u16 v30, v22
	ds_load_i8 v31, v23
	ds_load_i8 v32, v23 offset:1
	s_wait_dscnt 0x3
	v_dual_add_nc_u32 v33, 1, v21 :: v_dual_add_nc_u32 v34, 1, v20
	v_mad_nc_u64_u32 v[22:23], s2, v20, v[6:7]
	s_wait_xcnt 0x2
	v_mad_nc_u64_u32 v[24:25], s13, v21, v[6:7]
	s_wait_xcnt 0x1
	;; [unrolled: 2-line block ×3, first 2 shown]
	v_mad_nc_u64_u32 v[28:29], s2, v34, v[6:7]
	s_delay_alu instid0(VALU_DEP_4) | instskip(NEXT) | instid1(VALU_DEP_4)
	v_mad_u32 v23, s3, v20, v23
	v_mad_u32 v25, s16, v21, v25
	v_dual_ashrrev_i32 v20, 31, v20 :: v_dual_ashrrev_i32 v21, 31, v21
	v_mad_u32 v27, s16, v33, v27
	v_mad_u32 v29, s3, v34, v29
	v_dual_ashrrev_i32 v33, 31, v33 :: v_dual_ashrrev_i32 v34, 31, v34
	s_delay_alu instid0(VALU_DEP_4) | instskip(SKIP_1) | instid1(VALU_DEP_3)
	v_mad_u32 v23, s2, v20, v23
	v_mad_u32 v25, s13, v21, v25
	v_mad_u32 v27, s13, v33, v27
	s_delay_alu instid0(VALU_DEP_4)
	v_mad_u32 v29, s2, v34, v29
	s_clause 0x3
	global_load_i8 v20, v[22:23], off
	global_load_i8 v21, v[24:25], off
	;; [unrolled: 1-line block ×4, first 2 shown]
	s_wait_dscnt 0x0
	s_wait_xcnt 0x3
	v_perm_b32 v22, v32, v31, 0xc0c0400
	v_perm_b32 v23, v30, v30, 0xc0c0100
	s_wait_loadcnt 0x1
	v_perm_b32 v21, v33, v21, 0xc0c0400
	s_wait_loadcnt 0x0
	v_perm_b32 v20, v34, v20, 0xc0c0400
	s_delay_alu instid0(VALU_DEP_2) | instskip(NEXT) | instid1(VALU_DEP_2)
	v_dot4_i32_iu8 v19, v22, v21, v19 neg_lo:[1,1,0]
	v_dot4_i32_iu8 v17, v23, v20, v17 neg_lo:[1,1,0]
	s_cbranch_scc1 .LBB82_20
; %bb.21:                               ;   in Loop: Header=BB82_16 Depth=2
	s_delay_alu instid0(VALU_DEP_1)
	v_add_nc_u32_e32 v17, v17, v19
	s_branch .LBB82_15
.LBB82_22:                              ;   in Loop: Header=BB82_13 Depth=1
	s_or_b32 exec_lo, exec_lo, s21
.LBB82_23:                              ;   in Loop: Header=BB82_13 Depth=1
	s_delay_alu instid0(SALU_CYCLE_1) | instskip(NEXT) | instid1(SALU_CYCLE_1)
	s_or_b32 exec_lo, exec_lo, s20
	s_mov_b32 s1, exec_lo
	v_cmpx_gt_i32_e64 s22, v4
	s_cbranch_execz .LBB82_12
; %bb.24:                               ;   in Loop: Header=BB82_13 Depth=1
	s_and_b32 vcc_lo, exec_lo, s5
	s_cbranch_vccz .LBB82_30
; %bb.25:                               ;   in Loop: Header=BB82_13 Depth=1
	s_and_b32 vcc_lo, exec_lo, s12
	s_mov_b32 s20, -1
	s_cbranch_vccz .LBB82_27
; %bb.26:                               ;   in Loop: Header=BB82_13 Depth=1
	v_lshl_add_u64 v[6:7], v[4:5], 2, v[2:3]
	v_mul_lo_u32 v19, v17, s18
	s_mov_b32 s20, 0
	global_load_b32 v18, v[6:7], off
	s_wait_loadcnt 0x0
	v_mad_u32 v18, v18, s19, v19
	global_store_b32 v[6:7], v18, off
.LBB82_27:                              ;   in Loop: Header=BB82_13 Depth=1
	s_and_not1_b32 vcc_lo, exec_lo, s20
	s_cbranch_vccnz .LBB82_29
; %bb.28:                               ;   in Loop: Header=BB82_13 Depth=1
	s_wait_xcnt 0x0
	v_mul_u64_e32 v[6:7], s[14:15], v[4:5]
	v_mul_lo_u32 v19, v17, s18
	s_delay_alu instid0(VALU_DEP_2)
	v_lshl_add_u64 v[6:7], v[6:7], 2, v[0:1]
	global_load_b32 v18, v[6:7], off
	s_wait_loadcnt 0x0
	v_mad_u32 v18, v18, s19, v19
	global_store_b32 v[6:7], v18, off
.LBB82_29:                              ;   in Loop: Header=BB82_13 Depth=1
	s_cbranch_execnz .LBB82_12
	s_branch .LBB82_31
.LBB82_30:                              ;   in Loop: Header=BB82_13 Depth=1
.LBB82_31:                              ;   in Loop: Header=BB82_13 Depth=1
	s_wait_xcnt 0x0
	v_mul_lo_u32 v6, v17, s18
	s_and_b32 vcc_lo, exec_lo, s12
	s_mov_b32 s20, -1
	s_cbranch_vccz .LBB82_33
; %bb.32:                               ;   in Loop: Header=BB82_13 Depth=1
	v_lshl_add_u64 v[18:19], v[4:5], 2, v[2:3]
	s_mov_b32 s20, 0
	global_store_b32 v[18:19], v6, off
.LBB82_33:                              ;   in Loop: Header=BB82_13 Depth=1
	s_and_not1_b32 vcc_lo, exec_lo, s20
	s_cbranch_vccnz .LBB82_12
; %bb.34:                               ;   in Loop: Header=BB82_13 Depth=1
	v_mul_u64_e32 v[4:5], s[14:15], v[4:5]
	s_delay_alu instid0(VALU_DEP_1)
	v_lshl_add_u64 v[4:5], v[4:5], 2, v[0:1]
	global_store_b32 v[4:5], v6, off
	s_branch .LBB82_12
.LBB82_35:
	s_endpgm
	.section	.rodata,"a",@progbits
	.p2align	6, 0x0
	.amdhsa_kernel _ZN9rocsparseL29bsrmmnt_small_blockdim_kernelILj64ELj16ELj2EiiaaiiEEv20rocsparse_direction_T3_S2_llNS_24const_host_device_scalarIT7_EEPKT2_PKS2_PKT4_PKT5_llS5_PT6_ll16rocsparse_order_21rocsparse_index_base_b
		.amdhsa_group_segment_fixed_size 448
		.amdhsa_private_segment_fixed_size 0
		.amdhsa_kernarg_size 392
		.amdhsa_user_sgpr_count 2
		.amdhsa_user_sgpr_dispatch_ptr 0
		.amdhsa_user_sgpr_queue_ptr 0
		.amdhsa_user_sgpr_kernarg_segment_ptr 1
		.amdhsa_user_sgpr_dispatch_id 0
		.amdhsa_user_sgpr_kernarg_preload_length 0
		.amdhsa_user_sgpr_kernarg_preload_offset 0
		.amdhsa_user_sgpr_private_segment_size 0
		.amdhsa_wavefront_size32 1
		.amdhsa_uses_dynamic_stack 0
		.amdhsa_enable_private_segment 0
		.amdhsa_system_sgpr_workgroup_id_x 1
		.amdhsa_system_sgpr_workgroup_id_y 0
		.amdhsa_system_sgpr_workgroup_id_z 0
		.amdhsa_system_sgpr_workgroup_info 0
		.amdhsa_system_vgpr_workitem_id 0
		.amdhsa_next_free_vgpr 35
		.amdhsa_next_free_sgpr 26
		.amdhsa_named_barrier_count 0
		.amdhsa_reserve_vcc 1
		.amdhsa_float_round_mode_32 0
		.amdhsa_float_round_mode_16_64 0
		.amdhsa_float_denorm_mode_32 3
		.amdhsa_float_denorm_mode_16_64 3
		.amdhsa_fp16_overflow 0
		.amdhsa_memory_ordered 1
		.amdhsa_forward_progress 1
		.amdhsa_inst_pref_size 12
		.amdhsa_round_robin_scheduling 0
		.amdhsa_exception_fp_ieee_invalid_op 0
		.amdhsa_exception_fp_denorm_src 0
		.amdhsa_exception_fp_ieee_div_zero 0
		.amdhsa_exception_fp_ieee_overflow 0
		.amdhsa_exception_fp_ieee_underflow 0
		.amdhsa_exception_fp_ieee_inexact 0
		.amdhsa_exception_int_div_zero 0
	.end_amdhsa_kernel
	.section	.text._ZN9rocsparseL29bsrmmnt_small_blockdim_kernelILj64ELj16ELj2EiiaaiiEEv20rocsparse_direction_T3_S2_llNS_24const_host_device_scalarIT7_EEPKT2_PKS2_PKT4_PKT5_llS5_PT6_ll16rocsparse_order_21rocsparse_index_base_b,"axG",@progbits,_ZN9rocsparseL29bsrmmnt_small_blockdim_kernelILj64ELj16ELj2EiiaaiiEEv20rocsparse_direction_T3_S2_llNS_24const_host_device_scalarIT7_EEPKT2_PKS2_PKT4_PKT5_llS5_PT6_ll16rocsparse_order_21rocsparse_index_base_b,comdat
.Lfunc_end82:
	.size	_ZN9rocsparseL29bsrmmnt_small_blockdim_kernelILj64ELj16ELj2EiiaaiiEEv20rocsparse_direction_T3_S2_llNS_24const_host_device_scalarIT7_EEPKT2_PKS2_PKT4_PKT5_llS5_PT6_ll16rocsparse_order_21rocsparse_index_base_b, .Lfunc_end82-_ZN9rocsparseL29bsrmmnt_small_blockdim_kernelILj64ELj16ELj2EiiaaiiEEv20rocsparse_direction_T3_S2_llNS_24const_host_device_scalarIT7_EEPKT2_PKS2_PKT4_PKT5_llS5_PT6_ll16rocsparse_order_21rocsparse_index_base_b
                                        ; -- End function
	.set _ZN9rocsparseL29bsrmmnt_small_blockdim_kernelILj64ELj16ELj2EiiaaiiEEv20rocsparse_direction_T3_S2_llNS_24const_host_device_scalarIT7_EEPKT2_PKS2_PKT4_PKT5_llS5_PT6_ll16rocsparse_order_21rocsparse_index_base_b.num_vgpr, 35
	.set _ZN9rocsparseL29bsrmmnt_small_blockdim_kernelILj64ELj16ELj2EiiaaiiEEv20rocsparse_direction_T3_S2_llNS_24const_host_device_scalarIT7_EEPKT2_PKS2_PKT4_PKT5_llS5_PT6_ll16rocsparse_order_21rocsparse_index_base_b.num_agpr, 0
	.set _ZN9rocsparseL29bsrmmnt_small_blockdim_kernelILj64ELj16ELj2EiiaaiiEEv20rocsparse_direction_T3_S2_llNS_24const_host_device_scalarIT7_EEPKT2_PKS2_PKT4_PKT5_llS5_PT6_ll16rocsparse_order_21rocsparse_index_base_b.numbered_sgpr, 26
	.set _ZN9rocsparseL29bsrmmnt_small_blockdim_kernelILj64ELj16ELj2EiiaaiiEEv20rocsparse_direction_T3_S2_llNS_24const_host_device_scalarIT7_EEPKT2_PKS2_PKT4_PKT5_llS5_PT6_ll16rocsparse_order_21rocsparse_index_base_b.num_named_barrier, 0
	.set _ZN9rocsparseL29bsrmmnt_small_blockdim_kernelILj64ELj16ELj2EiiaaiiEEv20rocsparse_direction_T3_S2_llNS_24const_host_device_scalarIT7_EEPKT2_PKS2_PKT4_PKT5_llS5_PT6_ll16rocsparse_order_21rocsparse_index_base_b.private_seg_size, 0
	.set _ZN9rocsparseL29bsrmmnt_small_blockdim_kernelILj64ELj16ELj2EiiaaiiEEv20rocsparse_direction_T3_S2_llNS_24const_host_device_scalarIT7_EEPKT2_PKS2_PKT4_PKT5_llS5_PT6_ll16rocsparse_order_21rocsparse_index_base_b.uses_vcc, 1
	.set _ZN9rocsparseL29bsrmmnt_small_blockdim_kernelILj64ELj16ELj2EiiaaiiEEv20rocsparse_direction_T3_S2_llNS_24const_host_device_scalarIT7_EEPKT2_PKS2_PKT4_PKT5_llS5_PT6_ll16rocsparse_order_21rocsparse_index_base_b.uses_flat_scratch, 0
	.set _ZN9rocsparseL29bsrmmnt_small_blockdim_kernelILj64ELj16ELj2EiiaaiiEEv20rocsparse_direction_T3_S2_llNS_24const_host_device_scalarIT7_EEPKT2_PKS2_PKT4_PKT5_llS5_PT6_ll16rocsparse_order_21rocsparse_index_base_b.has_dyn_sized_stack, 0
	.set _ZN9rocsparseL29bsrmmnt_small_blockdim_kernelILj64ELj16ELj2EiiaaiiEEv20rocsparse_direction_T3_S2_llNS_24const_host_device_scalarIT7_EEPKT2_PKS2_PKT4_PKT5_llS5_PT6_ll16rocsparse_order_21rocsparse_index_base_b.has_recursion, 0
	.set _ZN9rocsparseL29bsrmmnt_small_blockdim_kernelILj64ELj16ELj2EiiaaiiEEv20rocsparse_direction_T3_S2_llNS_24const_host_device_scalarIT7_EEPKT2_PKS2_PKT4_PKT5_llS5_PT6_ll16rocsparse_order_21rocsparse_index_base_b.has_indirect_call, 0
	.section	.AMDGPU.csdata,"",@progbits
; Kernel info:
; codeLenInByte = 1488
; TotalNumSgprs: 28
; NumVgprs: 35
; ScratchSize: 0
; MemoryBound: 0
; FloatMode: 240
; IeeeMode: 1
; LDSByteSize: 448 bytes/workgroup (compile time only)
; SGPRBlocks: 0
; VGPRBlocks: 2
; NumSGPRsForWavesPerEU: 28
; NumVGPRsForWavesPerEU: 35
; NamedBarCnt: 0
; Occupancy: 16
; WaveLimiterHint : 0
; COMPUTE_PGM_RSRC2:SCRATCH_EN: 0
; COMPUTE_PGM_RSRC2:USER_SGPR: 2
; COMPUTE_PGM_RSRC2:TRAP_HANDLER: 0
; COMPUTE_PGM_RSRC2:TGID_X_EN: 1
; COMPUTE_PGM_RSRC2:TGID_Y_EN: 0
; COMPUTE_PGM_RSRC2:TGID_Z_EN: 0
; COMPUTE_PGM_RSRC2:TIDIG_COMP_CNT: 0
	.section	.text._ZN9rocsparseL29bsrmmnt_small_blockdim_kernelILj64ELj32ELj2EiiaaiiEEv20rocsparse_direction_T3_S2_llNS_24const_host_device_scalarIT7_EEPKT2_PKS2_PKT4_PKT5_llS5_PT6_ll16rocsparse_order_21rocsparse_index_base_b,"axG",@progbits,_ZN9rocsparseL29bsrmmnt_small_blockdim_kernelILj64ELj32ELj2EiiaaiiEEv20rocsparse_direction_T3_S2_llNS_24const_host_device_scalarIT7_EEPKT2_PKS2_PKT4_PKT5_llS5_PT6_ll16rocsparse_order_21rocsparse_index_base_b,comdat
	.globl	_ZN9rocsparseL29bsrmmnt_small_blockdim_kernelILj64ELj32ELj2EiiaaiiEEv20rocsparse_direction_T3_S2_llNS_24const_host_device_scalarIT7_EEPKT2_PKS2_PKT4_PKT5_llS5_PT6_ll16rocsparse_order_21rocsparse_index_base_b ; -- Begin function _ZN9rocsparseL29bsrmmnt_small_blockdim_kernelILj64ELj32ELj2EiiaaiiEEv20rocsparse_direction_T3_S2_llNS_24const_host_device_scalarIT7_EEPKT2_PKS2_PKT4_PKT5_llS5_PT6_ll16rocsparse_order_21rocsparse_index_base_b
	.p2align	8
	.type	_ZN9rocsparseL29bsrmmnt_small_blockdim_kernelILj64ELj32ELj2EiiaaiiEEv20rocsparse_direction_T3_S2_llNS_24const_host_device_scalarIT7_EEPKT2_PKS2_PKT4_PKT5_llS5_PT6_ll16rocsparse_order_21rocsparse_index_base_b,@function
_ZN9rocsparseL29bsrmmnt_small_blockdim_kernelILj64ELj32ELj2EiiaaiiEEv20rocsparse_direction_T3_S2_llNS_24const_host_device_scalarIT7_EEPKT2_PKS2_PKT4_PKT5_llS5_PT6_ll16rocsparse_order_21rocsparse_index_base_b: ; @_ZN9rocsparseL29bsrmmnt_small_blockdim_kernelILj64ELj32ELj2EiiaaiiEEv20rocsparse_direction_T3_S2_llNS_24const_host_device_scalarIT7_EEPKT2_PKS2_PKT4_PKT5_llS5_PT6_ll16rocsparse_order_21rocsparse_index_base_b
; %bb.0:
	s_clause 0x1
	s_load_b96 s[16:18], s[0:1], 0x78
	s_load_b64 s[4:5], s[0:1], 0x20
	s_mov_b32 s7, -1
	s_wait_kmcnt 0x0
	s_bitcmp1_b32 s18, 0
                                        ; implicit-def: $sgpr18
	s_cselect_b32 s2, -1, 0
	s_delay_alu instid0(SALU_CYCLE_1) | instskip(NEXT) | instid1(SALU_CYCLE_1)
	s_xor_b32 s6, s2, -1
	s_and_b32 vcc_lo, exec_lo, s6
	s_cbranch_vccnz .LBB83_4
; %bb.1:
	s_load_b64 s[2:3], s[0:1], 0x58
	s_and_not1_b32 vcc_lo, exec_lo, s7
	s_cbranch_vccz .LBB83_5
.LBB83_2:
	s_and_b32 vcc_lo, exec_lo, s6
	s_cbranch_vccz .LBB83_6
.LBB83_3:
	s_wait_kmcnt 0x0
	s_load_b32 s19, s[2:3], 0x0
	s_wait_xcnt 0x0
	s_cbranch_execz .LBB83_7
	s_branch .LBB83_8
.LBB83_4:
	s_load_b32 s18, s[4:5], 0x0
	s_load_b64 s[2:3], s[0:1], 0x58
	s_cbranch_execnz .LBB83_2
.LBB83_5:
	s_wait_kmcnt 0x0
	s_mov_b32 s18, s4
	s_and_b32 vcc_lo, exec_lo, s6
	s_cbranch_vccnz .LBB83_3
.LBB83_6:
	s_wait_kmcnt 0x0
                                        ; implicit-def: $sgpr19
.LBB83_7:
	s_wait_kmcnt 0x0
	s_mov_b32 s19, s2
.LBB83_8:
	s_cmp_eq_u32 s18, 0
	s_cselect_b32 s2, -1, 0
	s_wait_kmcnt 0x0
	s_cmp_eq_u32 s19, 1
	s_cselect_b32 s3, -1, 0
	s_delay_alu instid0(SALU_CYCLE_1) | instskip(NEXT) | instid1(SALU_CYCLE_1)
	s_and_b32 s2, s2, s3
	s_and_b32 vcc_lo, exec_lo, s2
	s_cbranch_vccnz .LBB83_35
; %bb.9:
	s_clause 0x1
	s_load_b32 s2, s[0:1], 0x94
	s_load_b96 s[20:22], s[0:1], 0x0
	s_bfe_u32 s3, ttmp6, 0x4000c
	s_and_b32 s4, ttmp6, 15
	s_add_co_i32 s3, s3, 1
	s_getreg_b32 s5, hwreg(HW_REG_IB_STS2, 6, 4)
	s_mul_i32 s3, ttmp9, s3
	s_delay_alu instid0(SALU_CYCLE_1) | instskip(SKIP_4) | instid1(SALU_CYCLE_1)
	s_add_co_i32 s4, s4, s3
	s_wait_kmcnt 0x0
	s_and_b32 s2, s2, 0xffff
	s_cmp_eq_u32 s5, 0
	s_cselect_b32 s3, ttmp9, s4
	v_mad_u32 v1, s3, s2, v0
	s_mov_b32 s2, exec_lo
	s_delay_alu instid0(VALU_DEP_1) | instskip(NEXT) | instid1(VALU_DEP_1)
	v_lshrrev_b32_e32 v2, 6, v1
	v_cmpx_gt_i32_e64 s21, v2
	s_cbranch_execz .LBB83_35
; %bb.10:
	s_cmp_lt_i32 s22, 1
	s_cbranch_scc1 .LBB83_35
; %bb.11:
	s_load_b256 s[4:11], s[0:1], 0x28
	v_dual_mov_b32 v3, 0 :: v_dual_lshlrev_b32 v2, 2, v2
	s_clause 0x1
	s_load_b128 s[12:15], s[0:1], 0x60
	s_load_b64 s[2:3], s[0:1], 0x48
	s_cmp_eq_u32 s20, 0
	v_dual_lshrrev_b32 v10, 5, v0 :: v_dual_bitop2_b32 v8, 31, v0 bitop3:0x40
	s_cselect_b32 vcc_lo, -1, 0
	s_cmp_lg_u32 s19, 0
	s_delay_alu instid0(VALU_DEP_1) | instskip(SKIP_2) | instid1(VALU_DEP_3)
	v_mul_u32_u24_e32 v11, 0x60, v10
	v_lshlrev_b32_e32 v9, 7, v10
	v_mul_u32_u24_e32 v16, 3, v8
	v_or_b32_e32 v11, 0x100, v11
	s_delay_alu instid0(VALU_DEP_3)
	v_lshl_or_b32 v10, v8, 2, v9
	s_wait_kmcnt 0x0
	global_load_b64 v[4:5], v2, s[4:5]
	s_wait_xcnt 0x0
	v_lshrrev_b32_e32 v2, 5, v1
	v_bfe_u32 v1, v1, 5, 1
	s_cselect_b32 s5, -1, 0
	s_cmp_lg_u32 s16, 1
	s_mov_b32 s4, 0
	v_mul_u64_e32 v[6:7], s[14:15], v[2:3]
	v_dual_lshlrev_b32 v12, 1, v1 :: v_dual_bitop2_b32 v0, 2, v1 bitop3:0x54
	v_lshlrev_b32_e32 v2, 2, v2
	s_mov_b32 s16, s3
	v_add_nc_u32_e32 v16, v11, v16
	s_delay_alu instid0(VALU_DEP_3) | instskip(NEXT) | instid1(VALU_DEP_1)
	v_dual_cndmask_b32 v12, v1, v12, vcc_lo :: v_dual_bitop2_b32 v13, 1, v12 bitop3:0x54
	v_cndmask_b32_e32 v13, v0, v13, vcc_lo
	v_add_nc_u64_e32 v[0:1], s[12:13], v[2:3]
	v_lshl_add_u64 v[2:3], v[6:7], 2, s[12:13]
	s_cselect_b32 s12, -1, 0
	s_mov_b32 s13, s2
	s_wait_loadcnt 0x0
	v_subrev_nc_u32_e32 v14, s17, v4
	v_subrev_nc_u32_e32 v15, s17, v5
	v_cmp_lt_i32_e64 s0, v4, v5
	s_branch .LBB83_13
.LBB83_12:                              ;   in Loop: Header=BB83_13 Depth=1
	s_wait_xcnt 0x0
	s_or_b32 exec_lo, exec_lo, s1
	s_add_co_i32 s4, s4, 32
	s_delay_alu instid0(SALU_CYCLE_1)
	s_cmp_lt_i32 s4, s22
	s_cbranch_scc0 .LBB83_35
.LBB83_13:                              ; =>This Loop Header: Depth=1
                                        ;     Child Loop BB83_16 Depth 2
                                        ;       Child Loop BB83_20 Depth 3
	v_dual_mov_b32 v17, 0 :: v_dual_bitop2_b32 v4, s4, v8 bitop3:0x54
	s_delay_alu instid0(VALU_DEP_1) | instskip(NEXT) | instid1(VALU_DEP_3)
	v_ashrrev_i32_e32 v5, 31, v4
	s_and_saveexec_b32 s20, s0
	s_cbranch_execz .LBB83_23
; %bb.14:                               ;   in Loop: Header=BB83_13 Depth=1
	s_delay_alu instid0(VALU_DEP_1)
	v_add_nc_u64_e32 v[6:7], s[10:11], v[4:5]
	v_dual_mov_b32 v17, 0 :: v_dual_mov_b32 v18, v14
	s_mov_b32 s21, 0
	v_cmp_gt_i32_e32 vcc_lo, s22, v4
	s_branch .LBB83_16
.LBB83_15:                              ;   in Loop: Header=BB83_16 Depth=2
	s_wait_xcnt 0x0
	s_or_b32 exec_lo, exec_lo, s1
	v_add_nc_u32_e32 v18, 32, v18
	s_delay_alu instid0(VALU_DEP_1) | instskip(SKIP_1) | instid1(SALU_CYCLE_1)
	v_cmp_ge_i32_e64 s1, v18, v15
	s_or_b32 s21, s1, s21
	s_and_not1_b32 exec_lo, exec_lo, s21
	s_cbranch_execz .LBB83_22
.LBB83_16:                              ;   Parent Loop BB83_13 Depth=1
                                        ; =>  This Loop Header: Depth=2
                                        ;       Child Loop BB83_20 Depth 3
	s_delay_alu instid0(VALU_DEP_2) | instskip(SKIP_2) | instid1(VALU_DEP_2)
	v_dual_mov_b32 v21, 0 :: v_dual_add_nc_u32 v22, v18, v8
	v_dual_mov_b32 v19, 0 :: v_dual_mov_b32 v20, 0
	s_mov_b32 s23, exec_lo
	v_cmpx_lt_i32_e64 v22, v15
	s_cbranch_execz .LBB83_18
; %bb.17:                               ;   in Loop: Header=BB83_16 Depth=2
	global_load_b32 v21, v22, s[6:7] scale_offset
	s_wait_loadcnt 0x0
	v_subrev_nc_u32_e32 v21, s17, v21
	s_delay_alu instid0(VALU_DEP_1) | instskip(SKIP_1) | instid1(VALU_DEP_1)
	v_dual_lshlrev_b32 v19, 2, v22 :: v_dual_lshlrev_b32 v21, 1, v21
	s_wait_xcnt 0x0
	v_or_b32_e32 v22, v19, v12
	v_or_b32_e32 v23, v19, v13
	s_clause 0x1
	global_load_u8 v19, v22, s[8:9]
	global_load_u8 v20, v23, s[8:9]
.LBB83_18:                              ;   in Loop: Header=BB83_16 Depth=2
	s_wait_xcnt 0x0
	s_or_b32 exec_lo, exec_lo, s23
	ds_store_b32 v10, v21
	s_wait_loadcnt 0x1
	ds_store_b8 v16, v19
	s_wait_loadcnt 0x0
	ds_store_b8 v16, v20 offset:1
	s_wait_dscnt 0x0
	s_barrier_signal -1
	s_barrier_wait -1
	s_and_saveexec_b32 s1, vcc_lo
	s_cbranch_execz .LBB83_15
; %bb.19:                               ;   in Loop: Header=BB83_16 Depth=2
	v_mov_b32_e32 v19, 0
	s_mov_b32 s23, 1
	s_mov_b32 s24, 0
	;; [unrolled: 1-line block ×3, first 2 shown]
.LBB83_20:                              ;   Parent Loop BB83_13 Depth=1
                                        ;     Parent Loop BB83_16 Depth=2
                                        ; =>    This Inner Loop Header: Depth=3
	v_add_nc_u32_e32 v20, s24, v9
	v_mad_u32 v22, s25, 3, v11
	v_mad_u32 v23, s23, 3, v11
	s_add_co_i32 s24, s24, 8
	s_add_co_i32 s25, s25, 2
	ds_load_b64 v[20:21], v20
	s_add_co_i32 s23, s23, 2
	s_cmp_lg_u32 s24, 0x80
	ds_load_u16 v30, v22
	ds_load_i8 v31, v23
	ds_load_i8 v32, v23 offset:1
	s_wait_dscnt 0x3
	v_dual_add_nc_u32 v33, 1, v21 :: v_dual_add_nc_u32 v34, 1, v20
	v_mad_nc_u64_u32 v[22:23], s2, v20, v[6:7]
	s_wait_xcnt 0x2
	v_mad_nc_u64_u32 v[24:25], s13, v21, v[6:7]
	s_wait_xcnt 0x1
	;; [unrolled: 2-line block ×3, first 2 shown]
	v_mad_nc_u64_u32 v[28:29], s2, v34, v[6:7]
	s_delay_alu instid0(VALU_DEP_4) | instskip(NEXT) | instid1(VALU_DEP_4)
	v_mad_u32 v23, s3, v20, v23
	v_mad_u32 v25, s16, v21, v25
	v_dual_ashrrev_i32 v20, 31, v20 :: v_dual_ashrrev_i32 v21, 31, v21
	v_mad_u32 v27, s16, v33, v27
	v_mad_u32 v29, s3, v34, v29
	v_dual_ashrrev_i32 v33, 31, v33 :: v_dual_ashrrev_i32 v34, 31, v34
	s_delay_alu instid0(VALU_DEP_4) | instskip(SKIP_1) | instid1(VALU_DEP_3)
	v_mad_u32 v23, s2, v20, v23
	v_mad_u32 v25, s13, v21, v25
	;; [unrolled: 1-line block ×3, first 2 shown]
	s_delay_alu instid0(VALU_DEP_4)
	v_mad_u32 v29, s2, v34, v29
	s_clause 0x3
	global_load_i8 v20, v[22:23], off
	global_load_i8 v21, v[24:25], off
	global_load_i8 v33, v[26:27], off
	global_load_i8 v34, v[28:29], off
	s_wait_dscnt 0x0
	s_wait_xcnt 0x3
	v_perm_b32 v22, v32, v31, 0xc0c0400
	v_perm_b32 v23, v30, v30, 0xc0c0100
	s_wait_loadcnt 0x1
	v_perm_b32 v21, v33, v21, 0xc0c0400
	s_wait_loadcnt 0x0
	v_perm_b32 v20, v34, v20, 0xc0c0400
	s_delay_alu instid0(VALU_DEP_2) | instskip(NEXT) | instid1(VALU_DEP_2)
	v_dot4_i32_iu8 v19, v22, v21, v19 neg_lo:[1,1,0]
	v_dot4_i32_iu8 v17, v23, v20, v17 neg_lo:[1,1,0]
	s_cbranch_scc1 .LBB83_20
; %bb.21:                               ;   in Loop: Header=BB83_16 Depth=2
	s_delay_alu instid0(VALU_DEP_1)
	v_add_nc_u32_e32 v17, v17, v19
	s_branch .LBB83_15
.LBB83_22:                              ;   in Loop: Header=BB83_13 Depth=1
	s_or_b32 exec_lo, exec_lo, s21
.LBB83_23:                              ;   in Loop: Header=BB83_13 Depth=1
	s_delay_alu instid0(SALU_CYCLE_1) | instskip(NEXT) | instid1(SALU_CYCLE_1)
	s_or_b32 exec_lo, exec_lo, s20
	s_mov_b32 s1, exec_lo
	v_cmpx_gt_i32_e64 s22, v4
	s_cbranch_execz .LBB83_12
; %bb.24:                               ;   in Loop: Header=BB83_13 Depth=1
	s_and_b32 vcc_lo, exec_lo, s5
	s_cbranch_vccz .LBB83_30
; %bb.25:                               ;   in Loop: Header=BB83_13 Depth=1
	s_and_b32 vcc_lo, exec_lo, s12
	s_mov_b32 s20, -1
	s_cbranch_vccz .LBB83_27
; %bb.26:                               ;   in Loop: Header=BB83_13 Depth=1
	v_lshl_add_u64 v[6:7], v[4:5], 2, v[2:3]
	v_mul_lo_u32 v19, v17, s18
	s_mov_b32 s20, 0
	global_load_b32 v18, v[6:7], off
	s_wait_loadcnt 0x0
	v_mad_u32 v18, v18, s19, v19
	global_store_b32 v[6:7], v18, off
.LBB83_27:                              ;   in Loop: Header=BB83_13 Depth=1
	s_and_not1_b32 vcc_lo, exec_lo, s20
	s_cbranch_vccnz .LBB83_29
; %bb.28:                               ;   in Loop: Header=BB83_13 Depth=1
	s_wait_xcnt 0x0
	v_mul_u64_e32 v[6:7], s[14:15], v[4:5]
	v_mul_lo_u32 v19, v17, s18
	s_delay_alu instid0(VALU_DEP_2)
	v_lshl_add_u64 v[6:7], v[6:7], 2, v[0:1]
	global_load_b32 v18, v[6:7], off
	s_wait_loadcnt 0x0
	v_mad_u32 v18, v18, s19, v19
	global_store_b32 v[6:7], v18, off
.LBB83_29:                              ;   in Loop: Header=BB83_13 Depth=1
	s_cbranch_execnz .LBB83_12
	s_branch .LBB83_31
.LBB83_30:                              ;   in Loop: Header=BB83_13 Depth=1
.LBB83_31:                              ;   in Loop: Header=BB83_13 Depth=1
	s_wait_xcnt 0x0
	v_mul_lo_u32 v6, v17, s18
	s_and_b32 vcc_lo, exec_lo, s12
	s_mov_b32 s20, -1
	s_cbranch_vccz .LBB83_33
; %bb.32:                               ;   in Loop: Header=BB83_13 Depth=1
	v_lshl_add_u64 v[18:19], v[4:5], 2, v[2:3]
	s_mov_b32 s20, 0
	global_store_b32 v[18:19], v6, off
.LBB83_33:                              ;   in Loop: Header=BB83_13 Depth=1
	s_and_not1_b32 vcc_lo, exec_lo, s20
	s_cbranch_vccnz .LBB83_12
; %bb.34:                               ;   in Loop: Header=BB83_13 Depth=1
	v_mul_u64_e32 v[4:5], s[14:15], v[4:5]
	s_delay_alu instid0(VALU_DEP_1)
	v_lshl_add_u64 v[4:5], v[4:5], 2, v[0:1]
	global_store_b32 v[4:5], v6, off
	s_branch .LBB83_12
.LBB83_35:
	s_endpgm
	.section	.rodata,"a",@progbits
	.p2align	6, 0x0
	.amdhsa_kernel _ZN9rocsparseL29bsrmmnt_small_blockdim_kernelILj64ELj32ELj2EiiaaiiEEv20rocsparse_direction_T3_S2_llNS_24const_host_device_scalarIT7_EEPKT2_PKS2_PKT4_PKT5_llS5_PT6_ll16rocsparse_order_21rocsparse_index_base_b
		.amdhsa_group_segment_fixed_size 448
		.amdhsa_private_segment_fixed_size 0
		.amdhsa_kernarg_size 392
		.amdhsa_user_sgpr_count 2
		.amdhsa_user_sgpr_dispatch_ptr 0
		.amdhsa_user_sgpr_queue_ptr 0
		.amdhsa_user_sgpr_kernarg_segment_ptr 1
		.amdhsa_user_sgpr_dispatch_id 0
		.amdhsa_user_sgpr_kernarg_preload_length 0
		.amdhsa_user_sgpr_kernarg_preload_offset 0
		.amdhsa_user_sgpr_private_segment_size 0
		.amdhsa_wavefront_size32 1
		.amdhsa_uses_dynamic_stack 0
		.amdhsa_enable_private_segment 0
		.amdhsa_system_sgpr_workgroup_id_x 1
		.amdhsa_system_sgpr_workgroup_id_y 0
		.amdhsa_system_sgpr_workgroup_id_z 0
		.amdhsa_system_sgpr_workgroup_info 0
		.amdhsa_system_vgpr_workitem_id 0
		.amdhsa_next_free_vgpr 35
		.amdhsa_next_free_sgpr 26
		.amdhsa_named_barrier_count 0
		.amdhsa_reserve_vcc 1
		.amdhsa_float_round_mode_32 0
		.amdhsa_float_round_mode_16_64 0
		.amdhsa_float_denorm_mode_32 3
		.amdhsa_float_denorm_mode_16_64 3
		.amdhsa_fp16_overflow 0
		.amdhsa_memory_ordered 1
		.amdhsa_forward_progress 1
		.amdhsa_inst_pref_size 12
		.amdhsa_round_robin_scheduling 0
		.amdhsa_exception_fp_ieee_invalid_op 0
		.amdhsa_exception_fp_denorm_src 0
		.amdhsa_exception_fp_ieee_div_zero 0
		.amdhsa_exception_fp_ieee_overflow 0
		.amdhsa_exception_fp_ieee_underflow 0
		.amdhsa_exception_fp_ieee_inexact 0
		.amdhsa_exception_int_div_zero 0
	.end_amdhsa_kernel
	.section	.text._ZN9rocsparseL29bsrmmnt_small_blockdim_kernelILj64ELj32ELj2EiiaaiiEEv20rocsparse_direction_T3_S2_llNS_24const_host_device_scalarIT7_EEPKT2_PKS2_PKT4_PKT5_llS5_PT6_ll16rocsparse_order_21rocsparse_index_base_b,"axG",@progbits,_ZN9rocsparseL29bsrmmnt_small_blockdim_kernelILj64ELj32ELj2EiiaaiiEEv20rocsparse_direction_T3_S2_llNS_24const_host_device_scalarIT7_EEPKT2_PKS2_PKT4_PKT5_llS5_PT6_ll16rocsparse_order_21rocsparse_index_base_b,comdat
.Lfunc_end83:
	.size	_ZN9rocsparseL29bsrmmnt_small_blockdim_kernelILj64ELj32ELj2EiiaaiiEEv20rocsparse_direction_T3_S2_llNS_24const_host_device_scalarIT7_EEPKT2_PKS2_PKT4_PKT5_llS5_PT6_ll16rocsparse_order_21rocsparse_index_base_b, .Lfunc_end83-_ZN9rocsparseL29bsrmmnt_small_blockdim_kernelILj64ELj32ELj2EiiaaiiEEv20rocsparse_direction_T3_S2_llNS_24const_host_device_scalarIT7_EEPKT2_PKS2_PKT4_PKT5_llS5_PT6_ll16rocsparse_order_21rocsparse_index_base_b
                                        ; -- End function
	.set _ZN9rocsparseL29bsrmmnt_small_blockdim_kernelILj64ELj32ELj2EiiaaiiEEv20rocsparse_direction_T3_S2_llNS_24const_host_device_scalarIT7_EEPKT2_PKS2_PKT4_PKT5_llS5_PT6_ll16rocsparse_order_21rocsparse_index_base_b.num_vgpr, 35
	.set _ZN9rocsparseL29bsrmmnt_small_blockdim_kernelILj64ELj32ELj2EiiaaiiEEv20rocsparse_direction_T3_S2_llNS_24const_host_device_scalarIT7_EEPKT2_PKS2_PKT4_PKT5_llS5_PT6_ll16rocsparse_order_21rocsparse_index_base_b.num_agpr, 0
	.set _ZN9rocsparseL29bsrmmnt_small_blockdim_kernelILj64ELj32ELj2EiiaaiiEEv20rocsparse_direction_T3_S2_llNS_24const_host_device_scalarIT7_EEPKT2_PKS2_PKT4_PKT5_llS5_PT6_ll16rocsparse_order_21rocsparse_index_base_b.numbered_sgpr, 26
	.set _ZN9rocsparseL29bsrmmnt_small_blockdim_kernelILj64ELj32ELj2EiiaaiiEEv20rocsparse_direction_T3_S2_llNS_24const_host_device_scalarIT7_EEPKT2_PKS2_PKT4_PKT5_llS5_PT6_ll16rocsparse_order_21rocsparse_index_base_b.num_named_barrier, 0
	.set _ZN9rocsparseL29bsrmmnt_small_blockdim_kernelILj64ELj32ELj2EiiaaiiEEv20rocsparse_direction_T3_S2_llNS_24const_host_device_scalarIT7_EEPKT2_PKS2_PKT4_PKT5_llS5_PT6_ll16rocsparse_order_21rocsparse_index_base_b.private_seg_size, 0
	.set _ZN9rocsparseL29bsrmmnt_small_blockdim_kernelILj64ELj32ELj2EiiaaiiEEv20rocsparse_direction_T3_S2_llNS_24const_host_device_scalarIT7_EEPKT2_PKS2_PKT4_PKT5_llS5_PT6_ll16rocsparse_order_21rocsparse_index_base_b.uses_vcc, 1
	.set _ZN9rocsparseL29bsrmmnt_small_blockdim_kernelILj64ELj32ELj2EiiaaiiEEv20rocsparse_direction_T3_S2_llNS_24const_host_device_scalarIT7_EEPKT2_PKS2_PKT4_PKT5_llS5_PT6_ll16rocsparse_order_21rocsparse_index_base_b.uses_flat_scratch, 0
	.set _ZN9rocsparseL29bsrmmnt_small_blockdim_kernelILj64ELj32ELj2EiiaaiiEEv20rocsparse_direction_T3_S2_llNS_24const_host_device_scalarIT7_EEPKT2_PKS2_PKT4_PKT5_llS5_PT6_ll16rocsparse_order_21rocsparse_index_base_b.has_dyn_sized_stack, 0
	.set _ZN9rocsparseL29bsrmmnt_small_blockdim_kernelILj64ELj32ELj2EiiaaiiEEv20rocsparse_direction_T3_S2_llNS_24const_host_device_scalarIT7_EEPKT2_PKS2_PKT4_PKT5_llS5_PT6_ll16rocsparse_order_21rocsparse_index_base_b.has_recursion, 0
	.set _ZN9rocsparseL29bsrmmnt_small_blockdim_kernelILj64ELj32ELj2EiiaaiiEEv20rocsparse_direction_T3_S2_llNS_24const_host_device_scalarIT7_EEPKT2_PKS2_PKT4_PKT5_llS5_PT6_ll16rocsparse_order_21rocsparse_index_base_b.has_indirect_call, 0
	.section	.AMDGPU.csdata,"",@progbits
; Kernel info:
; codeLenInByte = 1496
; TotalNumSgprs: 28
; NumVgprs: 35
; ScratchSize: 0
; MemoryBound: 0
; FloatMode: 240
; IeeeMode: 1
; LDSByteSize: 448 bytes/workgroup (compile time only)
; SGPRBlocks: 0
; VGPRBlocks: 2
; NumSGPRsForWavesPerEU: 28
; NumVGPRsForWavesPerEU: 35
; NamedBarCnt: 0
; Occupancy: 16
; WaveLimiterHint : 0
; COMPUTE_PGM_RSRC2:SCRATCH_EN: 0
; COMPUTE_PGM_RSRC2:USER_SGPR: 2
; COMPUTE_PGM_RSRC2:TRAP_HANDLER: 0
; COMPUTE_PGM_RSRC2:TGID_X_EN: 1
; COMPUTE_PGM_RSRC2:TGID_Y_EN: 0
; COMPUTE_PGM_RSRC2:TGID_Z_EN: 0
; COMPUTE_PGM_RSRC2:TIDIG_COMP_CNT: 0
	.section	.text._ZN9rocsparseL29bsrmmnt_small_blockdim_kernelILj64ELj64ELj2EiiaaiiEEv20rocsparse_direction_T3_S2_llNS_24const_host_device_scalarIT7_EEPKT2_PKS2_PKT4_PKT5_llS5_PT6_ll16rocsparse_order_21rocsparse_index_base_b,"axG",@progbits,_ZN9rocsparseL29bsrmmnt_small_blockdim_kernelILj64ELj64ELj2EiiaaiiEEv20rocsparse_direction_T3_S2_llNS_24const_host_device_scalarIT7_EEPKT2_PKS2_PKT4_PKT5_llS5_PT6_ll16rocsparse_order_21rocsparse_index_base_b,comdat
	.globl	_ZN9rocsparseL29bsrmmnt_small_blockdim_kernelILj64ELj64ELj2EiiaaiiEEv20rocsparse_direction_T3_S2_llNS_24const_host_device_scalarIT7_EEPKT2_PKS2_PKT4_PKT5_llS5_PT6_ll16rocsparse_order_21rocsparse_index_base_b ; -- Begin function _ZN9rocsparseL29bsrmmnt_small_blockdim_kernelILj64ELj64ELj2EiiaaiiEEv20rocsparse_direction_T3_S2_llNS_24const_host_device_scalarIT7_EEPKT2_PKS2_PKT4_PKT5_llS5_PT6_ll16rocsparse_order_21rocsparse_index_base_b
	.p2align	8
	.type	_ZN9rocsparseL29bsrmmnt_small_blockdim_kernelILj64ELj64ELj2EiiaaiiEEv20rocsparse_direction_T3_S2_llNS_24const_host_device_scalarIT7_EEPKT2_PKS2_PKT4_PKT5_llS5_PT6_ll16rocsparse_order_21rocsparse_index_base_b,@function
_ZN9rocsparseL29bsrmmnt_small_blockdim_kernelILj64ELj64ELj2EiiaaiiEEv20rocsparse_direction_T3_S2_llNS_24const_host_device_scalarIT7_EEPKT2_PKS2_PKT4_PKT5_llS5_PT6_ll16rocsparse_order_21rocsparse_index_base_b: ; @_ZN9rocsparseL29bsrmmnt_small_blockdim_kernelILj64ELj64ELj2EiiaaiiEEv20rocsparse_direction_T3_S2_llNS_24const_host_device_scalarIT7_EEPKT2_PKS2_PKT4_PKT5_llS5_PT6_ll16rocsparse_order_21rocsparse_index_base_b
; %bb.0:
	s_clause 0x1
	s_load_b96 s[16:18], s[0:1], 0x78
	s_load_b64 s[4:5], s[0:1], 0x20
	s_mov_b32 s7, -1
	s_wait_kmcnt 0x0
	s_bitcmp1_b32 s18, 0
                                        ; implicit-def: $sgpr18
	s_cselect_b32 s2, -1, 0
	s_delay_alu instid0(SALU_CYCLE_1) | instskip(NEXT) | instid1(SALU_CYCLE_1)
	s_xor_b32 s6, s2, -1
	s_and_b32 vcc_lo, exec_lo, s6
	s_cbranch_vccnz .LBB84_4
; %bb.1:
	s_load_b64 s[2:3], s[0:1], 0x58
	s_and_not1_b32 vcc_lo, exec_lo, s7
	s_cbranch_vccz .LBB84_5
.LBB84_2:
	s_and_b32 vcc_lo, exec_lo, s6
	s_cbranch_vccz .LBB84_6
.LBB84_3:
	s_wait_kmcnt 0x0
	s_load_b32 s19, s[2:3], 0x0
	s_wait_xcnt 0x0
	s_cbranch_execz .LBB84_7
	s_branch .LBB84_8
.LBB84_4:
	s_load_b32 s18, s[4:5], 0x0
	s_load_b64 s[2:3], s[0:1], 0x58
	s_cbranch_execnz .LBB84_2
.LBB84_5:
	s_wait_kmcnt 0x0
	s_mov_b32 s18, s4
	s_and_b32 vcc_lo, exec_lo, s6
	s_cbranch_vccnz .LBB84_3
.LBB84_6:
	s_wait_kmcnt 0x0
                                        ; implicit-def: $sgpr19
.LBB84_7:
	s_wait_kmcnt 0x0
	s_mov_b32 s19, s2
.LBB84_8:
	s_cmp_eq_u32 s18, 0
	s_cselect_b32 s2, -1, 0
	s_wait_kmcnt 0x0
	s_cmp_eq_u32 s19, 1
	s_cselect_b32 s3, -1, 0
	s_delay_alu instid0(SALU_CYCLE_1) | instskip(NEXT) | instid1(SALU_CYCLE_1)
	s_and_b32 s2, s2, s3
	s_and_b32 vcc_lo, exec_lo, s2
	s_cbranch_vccnz .LBB84_35
; %bb.9:
	s_clause 0x1
	s_load_b32 s2, s[0:1], 0x94
	s_load_b96 s[20:22], s[0:1], 0x0
	s_bfe_u32 s3, ttmp6, 0x4000c
	s_and_b32 s4, ttmp6, 15
	s_add_co_i32 s3, s3, 1
	s_getreg_b32 s5, hwreg(HW_REG_IB_STS2, 6, 4)
	s_mul_i32 s3, ttmp9, s3
	s_delay_alu instid0(SALU_CYCLE_1) | instskip(SKIP_4) | instid1(SALU_CYCLE_1)
	s_add_co_i32 s4, s4, s3
	s_wait_kmcnt 0x0
	s_and_b32 s2, s2, 0xffff
	s_cmp_eq_u32 s5, 0
	s_cselect_b32 s3, ttmp9, s4
	v_mad_u32 v1, s3, s2, v0
	s_mov_b32 s2, exec_lo
	s_delay_alu instid0(VALU_DEP_1) | instskip(NEXT) | instid1(VALU_DEP_1)
	v_lshrrev_b32_e32 v2, 7, v1
	v_cmpx_gt_i32_e64 s21, v2
	s_cbranch_execz .LBB84_35
; %bb.10:
	s_cmp_lt_i32 s22, 1
	s_cbranch_scc1 .LBB84_35
; %bb.11:
	s_load_b256 s[4:11], s[0:1], 0x28
	v_dual_mov_b32 v3, 0 :: v_dual_lshlrev_b32 v2, 2, v2
	s_clause 0x1
	s_load_b128 s[12:15], s[0:1], 0x60
	s_load_b64 s[2:3], s[0:1], 0x48
	v_bfe_u32 v8, v1, 6, 1
	v_mul_u32_u24_e32 v14, 3, v0
	s_cmp_eq_u32 s20, 0
	s_cselect_b32 vcc_lo, -1, 0
	s_delay_alu instid0(VALU_DEP_2)
	v_dual_lshlrev_b32 v9, 1, v8 :: v_dual_bitop2_b32 v11, 2, v8 bitop3:0x54
	s_cmp_lg_u32 s19, 0
	v_add_nc_u32_e32 v14, 0x100, v14
	s_wait_kmcnt 0x0
	global_load_b64 v[6:7], v2, s[4:5]
	s_wait_xcnt 0x0
	v_dual_lshrrev_b32 v2, 6, v1 :: v_dual_lshlrev_b32 v1, 2, v0
	v_or_b32_e32 v12, 1, v9
	s_cselect_b32 s5, -1, 0
	s_cmp_lg_u32 s16, 1
	s_delay_alu instid0(VALU_DEP_2) | instskip(SKIP_4) | instid1(VALU_DEP_2)
	v_mul_u64_e32 v[4:5], s[14:15], v[2:3]
	v_dual_lshlrev_b32 v2, 2, v2 :: v_dual_cndmask_b32 v10, v8, v9, vcc_lo
	v_cndmask_b32_e32 v11, v11, v12, vcc_lo
	s_mov_b32 s4, 0
	s_mov_b32 s16, s3
	v_add_nc_u64_e32 v[2:3], s[12:13], v[2:3]
	s_delay_alu instid0(VALU_DEP_4)
	v_lshl_add_u64 v[4:5], v[4:5], 2, s[12:13]
	s_cselect_b32 s12, -1, 0
	s_mov_b32 s13, s2
	s_wait_loadcnt 0x0
	v_subrev_nc_u32_e32 v12, s17, v6
	v_subrev_nc_u32_e32 v13, s17, v7
	v_cmp_lt_i32_e64 s0, v6, v7
	s_branch .LBB84_13
.LBB84_12:                              ;   in Loop: Header=BB84_13 Depth=1
	s_wait_xcnt 0x0
	s_or_b32 exec_lo, exec_lo, s1
	s_add_co_i32 s4, s4, 64
	s_delay_alu instid0(SALU_CYCLE_1)
	s_cmp_lt_i32 s4, s22
	s_cbranch_scc0 .LBB84_35
.LBB84_13:                              ; =>This Loop Header: Depth=1
                                        ;     Child Loop BB84_16 Depth 2
                                        ;       Child Loop BB84_20 Depth 3
	v_dual_mov_b32 v15, 0 :: v_dual_bitop2_b32 v6, s4, v0 bitop3:0x54
	s_delay_alu instid0(VALU_DEP_1) | instskip(NEXT) | instid1(VALU_DEP_3)
	v_ashrrev_i32_e32 v7, 31, v6
	s_and_saveexec_b32 s20, s0
	s_cbranch_execz .LBB84_23
; %bb.14:                               ;   in Loop: Header=BB84_13 Depth=1
	s_delay_alu instid0(VALU_DEP_1)
	v_add_nc_u64_e32 v[8:9], s[10:11], v[6:7]
	v_dual_mov_b32 v15, 0 :: v_dual_mov_b32 v16, v12
	s_mov_b32 s21, 0
	v_cmp_gt_i32_e32 vcc_lo, s22, v6
	s_branch .LBB84_16
.LBB84_15:                              ;   in Loop: Header=BB84_16 Depth=2
	s_wait_xcnt 0x0
	s_or_b32 exec_lo, exec_lo, s1
	v_add_nc_u32_e32 v16, 64, v16
	s_delay_alu instid0(VALU_DEP_1) | instskip(SKIP_1) | instid1(SALU_CYCLE_1)
	v_cmp_ge_i32_e64 s1, v16, v13
	s_or_b32 s21, s1, s21
	s_and_not1_b32 exec_lo, exec_lo, s21
	s_cbranch_execz .LBB84_22
.LBB84_16:                              ;   Parent Loop BB84_13 Depth=1
                                        ; =>  This Loop Header: Depth=2
                                        ;       Child Loop BB84_20 Depth 3
	s_delay_alu instid0(VALU_DEP_2) | instskip(SKIP_2) | instid1(VALU_DEP_2)
	v_dual_mov_b32 v19, 0 :: v_dual_add_nc_u32 v20, v16, v0
	v_dual_mov_b32 v17, 0 :: v_dual_mov_b32 v18, 0
	s_mov_b32 s23, exec_lo
	v_cmpx_lt_i32_e64 v20, v13
	s_cbranch_execz .LBB84_18
; %bb.17:                               ;   in Loop: Header=BB84_16 Depth=2
	global_load_b32 v19, v20, s[6:7] scale_offset
	s_wait_loadcnt 0x0
	v_subrev_nc_u32_e32 v19, s17, v19
	s_delay_alu instid0(VALU_DEP_1) | instskip(SKIP_1) | instid1(VALU_DEP_1)
	v_dual_lshlrev_b32 v17, 2, v20 :: v_dual_lshlrev_b32 v19, 1, v19
	s_wait_xcnt 0x0
	v_or_b32_e32 v20, v17, v10
	v_or_b32_e32 v21, v17, v11
	s_clause 0x1
	global_load_u8 v17, v20, s[8:9]
	global_load_u8 v18, v21, s[8:9]
.LBB84_18:                              ;   in Loop: Header=BB84_16 Depth=2
	s_wait_xcnt 0x0
	s_or_b32 exec_lo, exec_lo, s23
	ds_store_b32 v1, v19
	s_wait_loadcnt 0x1
	ds_store_b8 v14, v17
	s_wait_loadcnt 0x0
	ds_store_b8 v14, v18 offset:1
	s_wait_dscnt 0x0
	s_barrier_signal -1
	s_barrier_wait -1
	s_and_saveexec_b32 s1, vcc_lo
	s_cbranch_execz .LBB84_15
; %bb.19:                               ;   in Loop: Header=BB84_16 Depth=2
	v_mov_b32_e32 v17, 0
	s_mov_b32 s23, 1
	s_mov_b32 s24, 0
	;; [unrolled: 1-line block ×3, first 2 shown]
.LBB84_20:                              ;   Parent Loop BB84_13 Depth=1
                                        ;     Parent Loop BB84_16 Depth=2
                                        ; =>    This Inner Loop Header: Depth=3
	v_mov_b32_e32 v18, s24
	v_mad_u32 v20, s25, 3, 0x100
	v_mad_u32 v21, s23, 3, 0x100
	s_add_co_i32 s24, s24, 8
	s_add_co_i32 s25, s25, 2
	ds_load_b64 v[18:19], v18
	s_add_co_i32 s23, s23, 2
	ds_load_u16 v26, v20
	ds_load_i8 v27, v21
	ds_load_i8 v28, v21 offset:1
	s_wait_dscnt 0x3
	v_readfirstlane_b32 s26, v19
	v_readfirstlane_b32 s27, v18
	s_ashr_i32 s28, s26, 31
	v_mad_nc_u64_u32 v[18:19], s2, s27, v[8:9]
	v_mad_nc_u64_u32 v[20:21], s13, s26, v[8:9]
	s_mul_i32 s31, s16, s26
	s_add_co_i32 s26, s26, 1
	s_ashr_i32 s29, s27, 31
	s_mul_i32 s30, s3, s27
	s_add_co_i32 s27, s27, 1
	s_wait_xcnt 0x1
	v_mad_nc_u64_u32 v[22:23], s13, s26, v[8:9]
	s_wait_xcnt 0x0
	v_mad_nc_u64_u32 v[24:25], s2, s27, v[8:9]
	s_mul_i32 s29, s2, s29
	s_ashr_i32 s33, s26, 31
	s_mul_i32 s28, s13, s28
	s_ashr_i32 s34, s27, 31
	s_mul_i32 s26, s16, s26
	s_mul_i32 s33, s13, s33
	v_add3_u32 v19, s29, s30, v19
	s_mul_i32 s27, s3, s27
	s_mul_i32 s34, s2, s34
	v_add3_u32 v21, s28, s31, v21
	v_add3_u32 v23, s33, s26, v23
	;; [unrolled: 1-line block ×3, first 2 shown]
	s_clause 0x3
	global_load_i8 v29, v[18:19], off
	global_load_i8 v30, v[20:21], off
	global_load_i8 v31, v[22:23], off
	global_load_i8 v32, v[24:25], off
	s_wait_dscnt 0x0
	s_wait_xcnt 0x3
	v_perm_b32 v18, v28, v27, 0xc0c0400
	v_perm_b32 v19, v26, v26, 0xc0c0100
	s_cmp_lg_u32 s24, 0x100
	s_wait_loadcnt 0x1
	s_wait_xcnt 0x2
	v_perm_b32 v20, v31, v30, 0xc0c0400
	s_wait_loadcnt 0x0
	v_perm_b32 v21, v32, v29, 0xc0c0400
	s_delay_alu instid0(VALU_DEP_2) | instskip(NEXT) | instid1(VALU_DEP_2)
	v_dot4_i32_iu8 v17, v18, v20, v17 neg_lo:[1,1,0]
	v_dot4_i32_iu8 v15, v19, v21, v15 neg_lo:[1,1,0]
	s_cbranch_scc1 .LBB84_20
; %bb.21:                               ;   in Loop: Header=BB84_16 Depth=2
	s_delay_alu instid0(VALU_DEP_1)
	v_add_nc_u32_e32 v15, v15, v17
	s_branch .LBB84_15
.LBB84_22:                              ;   in Loop: Header=BB84_13 Depth=1
	s_or_b32 exec_lo, exec_lo, s21
.LBB84_23:                              ;   in Loop: Header=BB84_13 Depth=1
	s_delay_alu instid0(SALU_CYCLE_1) | instskip(NEXT) | instid1(SALU_CYCLE_1)
	s_or_b32 exec_lo, exec_lo, s20
	s_mov_b32 s1, exec_lo
	v_cmpx_gt_i32_e64 s22, v6
	s_cbranch_execz .LBB84_12
; %bb.24:                               ;   in Loop: Header=BB84_13 Depth=1
	s_and_b32 vcc_lo, exec_lo, s5
	s_cbranch_vccz .LBB84_30
; %bb.25:                               ;   in Loop: Header=BB84_13 Depth=1
	s_and_b32 vcc_lo, exec_lo, s12
	s_mov_b32 s20, -1
	s_cbranch_vccz .LBB84_27
; %bb.26:                               ;   in Loop: Header=BB84_13 Depth=1
	v_lshl_add_u64 v[8:9], v[6:7], 2, v[4:5]
	v_mul_lo_u32 v17, v15, s18
	s_mov_b32 s20, 0
	global_load_b32 v16, v[8:9], off
	s_wait_loadcnt 0x0
	v_mad_u32 v16, v16, s19, v17
	global_store_b32 v[8:9], v16, off
.LBB84_27:                              ;   in Loop: Header=BB84_13 Depth=1
	s_and_not1_b32 vcc_lo, exec_lo, s20
	s_cbranch_vccnz .LBB84_29
; %bb.28:                               ;   in Loop: Header=BB84_13 Depth=1
	s_wait_xcnt 0x0
	v_mul_u64_e32 v[8:9], s[14:15], v[6:7]
	v_mul_lo_u32 v17, v15, s18
	s_delay_alu instid0(VALU_DEP_2)
	v_lshl_add_u64 v[8:9], v[8:9], 2, v[2:3]
	global_load_b32 v16, v[8:9], off
	s_wait_loadcnt 0x0
	v_mad_u32 v16, v16, s19, v17
	global_store_b32 v[8:9], v16, off
.LBB84_29:                              ;   in Loop: Header=BB84_13 Depth=1
	s_cbranch_execnz .LBB84_12
	s_branch .LBB84_31
.LBB84_30:                              ;   in Loop: Header=BB84_13 Depth=1
.LBB84_31:                              ;   in Loop: Header=BB84_13 Depth=1
	s_wait_xcnt 0x0
	v_mul_lo_u32 v8, v15, s18
	s_and_b32 vcc_lo, exec_lo, s12
	s_mov_b32 s20, -1
	s_cbranch_vccz .LBB84_33
; %bb.32:                               ;   in Loop: Header=BB84_13 Depth=1
	v_lshl_add_u64 v[16:17], v[6:7], 2, v[4:5]
	s_mov_b32 s20, 0
	global_store_b32 v[16:17], v8, off
.LBB84_33:                              ;   in Loop: Header=BB84_13 Depth=1
	s_and_not1_b32 vcc_lo, exec_lo, s20
	s_cbranch_vccnz .LBB84_12
; %bb.34:                               ;   in Loop: Header=BB84_13 Depth=1
	v_mul_u64_e32 v[6:7], s[14:15], v[6:7]
	s_delay_alu instid0(VALU_DEP_1)
	v_lshl_add_u64 v[6:7], v[6:7], 2, v[2:3]
	global_store_b32 v[6:7], v8, off
	s_branch .LBB84_12
.LBB84_35:
	s_endpgm
	.section	.rodata,"a",@progbits
	.p2align	6, 0x0
	.amdhsa_kernel _ZN9rocsparseL29bsrmmnt_small_blockdim_kernelILj64ELj64ELj2EiiaaiiEEv20rocsparse_direction_T3_S2_llNS_24const_host_device_scalarIT7_EEPKT2_PKS2_PKT4_PKT5_llS5_PT6_ll16rocsparse_order_21rocsparse_index_base_b
		.amdhsa_group_segment_fixed_size 448
		.amdhsa_private_segment_fixed_size 0
		.amdhsa_kernarg_size 392
		.amdhsa_user_sgpr_count 2
		.amdhsa_user_sgpr_dispatch_ptr 0
		.amdhsa_user_sgpr_queue_ptr 0
		.amdhsa_user_sgpr_kernarg_segment_ptr 1
		.amdhsa_user_sgpr_dispatch_id 0
		.amdhsa_user_sgpr_kernarg_preload_length 0
		.amdhsa_user_sgpr_kernarg_preload_offset 0
		.amdhsa_user_sgpr_private_segment_size 0
		.amdhsa_wavefront_size32 1
		.amdhsa_uses_dynamic_stack 0
		.amdhsa_enable_private_segment 0
		.amdhsa_system_sgpr_workgroup_id_x 1
		.amdhsa_system_sgpr_workgroup_id_y 0
		.amdhsa_system_sgpr_workgroup_id_z 0
		.amdhsa_system_sgpr_workgroup_info 0
		.amdhsa_system_vgpr_workitem_id 0
		.amdhsa_next_free_vgpr 33
		.amdhsa_next_free_sgpr 35
		.amdhsa_named_barrier_count 0
		.amdhsa_reserve_vcc 1
		.amdhsa_float_round_mode_32 0
		.amdhsa_float_round_mode_16_64 0
		.amdhsa_float_denorm_mode_32 3
		.amdhsa_float_denorm_mode_16_64 3
		.amdhsa_fp16_overflow 0
		.amdhsa_memory_ordered 1
		.amdhsa_forward_progress 1
		.amdhsa_inst_pref_size 12
		.amdhsa_round_robin_scheduling 0
		.amdhsa_exception_fp_ieee_invalid_op 0
		.amdhsa_exception_fp_denorm_src 0
		.amdhsa_exception_fp_ieee_div_zero 0
		.amdhsa_exception_fp_ieee_overflow 0
		.amdhsa_exception_fp_ieee_underflow 0
		.amdhsa_exception_fp_ieee_inexact 0
		.amdhsa_exception_int_div_zero 0
	.end_amdhsa_kernel
	.section	.text._ZN9rocsparseL29bsrmmnt_small_blockdim_kernelILj64ELj64ELj2EiiaaiiEEv20rocsparse_direction_T3_S2_llNS_24const_host_device_scalarIT7_EEPKT2_PKS2_PKT4_PKT5_llS5_PT6_ll16rocsparse_order_21rocsparse_index_base_b,"axG",@progbits,_ZN9rocsparseL29bsrmmnt_small_blockdim_kernelILj64ELj64ELj2EiiaaiiEEv20rocsparse_direction_T3_S2_llNS_24const_host_device_scalarIT7_EEPKT2_PKS2_PKT4_PKT5_llS5_PT6_ll16rocsparse_order_21rocsparse_index_base_b,comdat
.Lfunc_end84:
	.size	_ZN9rocsparseL29bsrmmnt_small_blockdim_kernelILj64ELj64ELj2EiiaaiiEEv20rocsparse_direction_T3_S2_llNS_24const_host_device_scalarIT7_EEPKT2_PKS2_PKT4_PKT5_llS5_PT6_ll16rocsparse_order_21rocsparse_index_base_b, .Lfunc_end84-_ZN9rocsparseL29bsrmmnt_small_blockdim_kernelILj64ELj64ELj2EiiaaiiEEv20rocsparse_direction_T3_S2_llNS_24const_host_device_scalarIT7_EEPKT2_PKS2_PKT4_PKT5_llS5_PT6_ll16rocsparse_order_21rocsparse_index_base_b
                                        ; -- End function
	.set _ZN9rocsparseL29bsrmmnt_small_blockdim_kernelILj64ELj64ELj2EiiaaiiEEv20rocsparse_direction_T3_S2_llNS_24const_host_device_scalarIT7_EEPKT2_PKS2_PKT4_PKT5_llS5_PT6_ll16rocsparse_order_21rocsparse_index_base_b.num_vgpr, 33
	.set _ZN9rocsparseL29bsrmmnt_small_blockdim_kernelILj64ELj64ELj2EiiaaiiEEv20rocsparse_direction_T3_S2_llNS_24const_host_device_scalarIT7_EEPKT2_PKS2_PKT4_PKT5_llS5_PT6_ll16rocsparse_order_21rocsparse_index_base_b.num_agpr, 0
	.set _ZN9rocsparseL29bsrmmnt_small_blockdim_kernelILj64ELj64ELj2EiiaaiiEEv20rocsparse_direction_T3_S2_llNS_24const_host_device_scalarIT7_EEPKT2_PKS2_PKT4_PKT5_llS5_PT6_ll16rocsparse_order_21rocsparse_index_base_b.numbered_sgpr, 35
	.set _ZN9rocsparseL29bsrmmnt_small_blockdim_kernelILj64ELj64ELj2EiiaaiiEEv20rocsparse_direction_T3_S2_llNS_24const_host_device_scalarIT7_EEPKT2_PKS2_PKT4_PKT5_llS5_PT6_ll16rocsparse_order_21rocsparse_index_base_b.num_named_barrier, 0
	.set _ZN9rocsparseL29bsrmmnt_small_blockdim_kernelILj64ELj64ELj2EiiaaiiEEv20rocsparse_direction_T3_S2_llNS_24const_host_device_scalarIT7_EEPKT2_PKS2_PKT4_PKT5_llS5_PT6_ll16rocsparse_order_21rocsparse_index_base_b.private_seg_size, 0
	.set _ZN9rocsparseL29bsrmmnt_small_blockdim_kernelILj64ELj64ELj2EiiaaiiEEv20rocsparse_direction_T3_S2_llNS_24const_host_device_scalarIT7_EEPKT2_PKS2_PKT4_PKT5_llS5_PT6_ll16rocsparse_order_21rocsparse_index_base_b.uses_vcc, 1
	.set _ZN9rocsparseL29bsrmmnt_small_blockdim_kernelILj64ELj64ELj2EiiaaiiEEv20rocsparse_direction_T3_S2_llNS_24const_host_device_scalarIT7_EEPKT2_PKS2_PKT4_PKT5_llS5_PT6_ll16rocsparse_order_21rocsparse_index_base_b.uses_flat_scratch, 0
	.set _ZN9rocsparseL29bsrmmnt_small_blockdim_kernelILj64ELj64ELj2EiiaaiiEEv20rocsparse_direction_T3_S2_llNS_24const_host_device_scalarIT7_EEPKT2_PKS2_PKT4_PKT5_llS5_PT6_ll16rocsparse_order_21rocsparse_index_base_b.has_dyn_sized_stack, 0
	.set _ZN9rocsparseL29bsrmmnt_small_blockdim_kernelILj64ELj64ELj2EiiaaiiEEv20rocsparse_direction_T3_S2_llNS_24const_host_device_scalarIT7_EEPKT2_PKS2_PKT4_PKT5_llS5_PT6_ll16rocsparse_order_21rocsparse_index_base_b.has_recursion, 0
	.set _ZN9rocsparseL29bsrmmnt_small_blockdim_kernelILj64ELj64ELj2EiiaaiiEEv20rocsparse_direction_T3_S2_llNS_24const_host_device_scalarIT7_EEPKT2_PKS2_PKT4_PKT5_llS5_PT6_ll16rocsparse_order_21rocsparse_index_base_b.has_indirect_call, 0
	.section	.AMDGPU.csdata,"",@progbits
; Kernel info:
; codeLenInByte = 1460
; TotalNumSgprs: 37
; NumVgprs: 33
; ScratchSize: 0
; MemoryBound: 0
; FloatMode: 240
; IeeeMode: 1
; LDSByteSize: 448 bytes/workgroup (compile time only)
; SGPRBlocks: 0
; VGPRBlocks: 2
; NumSGPRsForWavesPerEU: 37
; NumVGPRsForWavesPerEU: 33
; NamedBarCnt: 0
; Occupancy: 16
; WaveLimiterHint : 0
; COMPUTE_PGM_RSRC2:SCRATCH_EN: 0
; COMPUTE_PGM_RSRC2:USER_SGPR: 2
; COMPUTE_PGM_RSRC2:TRAP_HANDLER: 0
; COMPUTE_PGM_RSRC2:TGID_X_EN: 1
; COMPUTE_PGM_RSRC2:TGID_Y_EN: 0
; COMPUTE_PGM_RSRC2:TGID_Z_EN: 0
; COMPUTE_PGM_RSRC2:TIDIG_COMP_CNT: 0
	.section	.text._ZN9rocsparseL29bsrmmnt_small_blockdim_kernelILj64ELj8ELj2EliaaiiEEv20rocsparse_direction_T3_S2_llNS_24const_host_device_scalarIT7_EEPKT2_PKS2_PKT4_PKT5_llS5_PT6_ll16rocsparse_order_21rocsparse_index_base_b,"axG",@progbits,_ZN9rocsparseL29bsrmmnt_small_blockdim_kernelILj64ELj8ELj2EliaaiiEEv20rocsparse_direction_T3_S2_llNS_24const_host_device_scalarIT7_EEPKT2_PKS2_PKT4_PKT5_llS5_PT6_ll16rocsparse_order_21rocsparse_index_base_b,comdat
	.globl	_ZN9rocsparseL29bsrmmnt_small_blockdim_kernelILj64ELj8ELj2EliaaiiEEv20rocsparse_direction_T3_S2_llNS_24const_host_device_scalarIT7_EEPKT2_PKS2_PKT4_PKT5_llS5_PT6_ll16rocsparse_order_21rocsparse_index_base_b ; -- Begin function _ZN9rocsparseL29bsrmmnt_small_blockdim_kernelILj64ELj8ELj2EliaaiiEEv20rocsparse_direction_T3_S2_llNS_24const_host_device_scalarIT7_EEPKT2_PKS2_PKT4_PKT5_llS5_PT6_ll16rocsparse_order_21rocsparse_index_base_b
	.p2align	8
	.type	_ZN9rocsparseL29bsrmmnt_small_blockdim_kernelILj64ELj8ELj2EliaaiiEEv20rocsparse_direction_T3_S2_llNS_24const_host_device_scalarIT7_EEPKT2_PKS2_PKT4_PKT5_llS5_PT6_ll16rocsparse_order_21rocsparse_index_base_b,@function
_ZN9rocsparseL29bsrmmnt_small_blockdim_kernelILj64ELj8ELj2EliaaiiEEv20rocsparse_direction_T3_S2_llNS_24const_host_device_scalarIT7_EEPKT2_PKS2_PKT4_PKT5_llS5_PT6_ll16rocsparse_order_21rocsparse_index_base_b: ; @_ZN9rocsparseL29bsrmmnt_small_blockdim_kernelILj64ELj8ELj2EliaaiiEEv20rocsparse_direction_T3_S2_llNS_24const_host_device_scalarIT7_EEPKT2_PKS2_PKT4_PKT5_llS5_PT6_ll16rocsparse_order_21rocsparse_index_base_b
; %bb.0:
	s_clause 0x1
	s_load_b96 s[16:18], s[0:1], 0x78
	s_load_b64 s[4:5], s[0:1], 0x20
	s_mov_b32 s7, -1
	s_wait_kmcnt 0x0
	s_bitcmp1_b32 s18, 0
                                        ; implicit-def: $sgpr18
	s_cselect_b32 s2, -1, 0
	s_delay_alu instid0(SALU_CYCLE_1) | instskip(NEXT) | instid1(SALU_CYCLE_1)
	s_xor_b32 s6, s2, -1
	s_and_b32 vcc_lo, exec_lo, s6
	s_cbranch_vccnz .LBB85_4
; %bb.1:
	s_load_b64 s[2:3], s[0:1], 0x58
	s_and_not1_b32 vcc_lo, exec_lo, s7
	s_cbranch_vccz .LBB85_5
.LBB85_2:
	s_and_b32 vcc_lo, exec_lo, s6
	s_cbranch_vccz .LBB85_6
.LBB85_3:
	s_wait_kmcnt 0x0
	s_load_b32 s19, s[2:3], 0x0
	s_wait_xcnt 0x0
	s_cbranch_execz .LBB85_7
	s_branch .LBB85_8
.LBB85_4:
	s_load_b32 s18, s[4:5], 0x0
	s_load_b64 s[2:3], s[0:1], 0x58
	s_cbranch_execnz .LBB85_2
.LBB85_5:
	s_wait_kmcnt 0x0
	s_mov_b32 s18, s4
	s_and_b32 vcc_lo, exec_lo, s6
	s_cbranch_vccnz .LBB85_3
.LBB85_6:
	s_wait_kmcnt 0x0
                                        ; implicit-def: $sgpr19
.LBB85_7:
	s_wait_kmcnt 0x0
	s_mov_b32 s19, s2
.LBB85_8:
	s_cmp_eq_u32 s18, 0
	s_cselect_b32 s2, -1, 0
	s_wait_kmcnt 0x0
	s_cmp_eq_u32 s19, 1
	s_cselect_b32 s3, -1, 0
	s_delay_alu instid0(SALU_CYCLE_1) | instskip(NEXT) | instid1(SALU_CYCLE_1)
	s_and_b32 s2, s2, s3
	s_and_b32 vcc_lo, exec_lo, s2
	s_cbranch_vccnz .LBB85_35
; %bb.9:
	s_clause 0x1
	s_load_b32 s2, s[0:1], 0x94
	s_load_b96 s[20:22], s[0:1], 0x0
	s_bfe_u32 s3, ttmp6, 0x4000c
	s_and_b32 s4, ttmp6, 15
	s_add_co_i32 s3, s3, 1
	s_getreg_b32 s5, hwreg(HW_REG_IB_STS2, 6, 4)
	s_mul_i32 s3, ttmp9, s3
	s_delay_alu instid0(SALU_CYCLE_1) | instskip(SKIP_4) | instid1(SALU_CYCLE_1)
	s_add_co_i32 s4, s4, s3
	s_wait_kmcnt 0x0
	s_and_b32 s2, s2, 0xffff
	s_cmp_eq_u32 s5, 0
	s_cselect_b32 s3, ttmp9, s4
	v_mad_u32 v2, s3, s2, v0
	s_mov_b32 s2, exec_lo
	s_delay_alu instid0(VALU_DEP_1) | instskip(NEXT) | instid1(VALU_DEP_1)
	v_lshrrev_b32_e32 v1, 4, v2
	v_cmpx_gt_i32_e64 s21, v1
	s_cbranch_execz .LBB85_35
; %bb.10:
	s_cmp_lt_i32 s22, 1
	s_cbranch_scc1 .LBB85_35
; %bb.11:
	s_load_b256 s[4:11], s[0:1], 0x28
	v_dual_lshlrev_b32 v1, 3, v1 :: v_dual_lshrrev_b32 v4, 3, v2
	s_clause 0x1
	s_load_b128 s[12:15], s[0:1], 0x60
	s_load_b64 s[2:3], s[0:1], 0x48
	v_bfe_u32 v8, v2, 3, 1
	s_cmp_lg_u32 s19, 0
	v_lshrrev_b32_e32 v2, 3, v0
	s_cselect_b32 s21, -1, 0
	s_cmp_lg_u32 s16, 1
	v_and_b32_e32 v0, 7, v0
	s_cselect_b32 s16, -1, 0
	s_cmp_eq_u32 s20, 0
	v_mul_u32_u24_e32 v10, 24, v2
	s_wait_xcnt 0x0
	s_cselect_b32 s1, -1, 0
	v_dual_lshlrev_b32 v20, 5, v2 :: v_dual_lshlrev_b32 v2, 2, v4
	v_cndmask_b32_e64 v9, 0, 1, s1
	s_and_b32 s1, s1, exec_lo
	v_mul_u32_u24_e32 v16, 3, v0
	s_wait_kmcnt 0x0
	global_load_b128 v[12:15], v1, s[4:5]
	s_wait_xcnt 0x0
	v_mov_b32_e32 v1, 0
	v_or_b32_e32 v22, 0x100, v10
	s_mov_b32 s5, 0
	s_mov_b32 s4, s17
	v_lshl_or_b32 v21, v0, 2, v20
	v_dual_mov_b32 v5, v1 :: v_dual_mov_b32 v3, v1
	v_add_nc_u32_e32 v23, v22, v16
	s_delay_alu instid0(VALU_DEP_2) | instskip(SKIP_1) | instid1(VALU_DEP_4)
	v_mul_u64_e32 v[6:7], s[14:15], v[4:5]
	v_lshlrev_b32_e32 v4, v9, v8
	v_add_nc_u64_e32 v[2:3], s[12:13], v[2:3]
	s_delay_alu instid0(VALU_DEP_2) | instskip(SKIP_2) | instid1(VALU_DEP_4)
	v_add_nc_u64_e32 v[4:5], s[8:9], v[4:5]
	s_mov_b32 s8, s2
	s_mov_b32 s9, s3
	v_lshl_add_u64 v[6:7], v[6:7], 2, s[12:13]
	s_mov_b32 s12, s5
	s_wait_loadcnt 0x0
	v_sub_nc_u64_e64 v[8:9], v[12:13], s[4:5]
	v_sub_nc_u64_e64 v[10:11], v[14:15], s[4:5]
	v_cmp_lt_i64_e64 s0, v[12:13], v[14:15]
	s_cselect_b32 s4, 1, 2
	s_branch .LBB85_13
.LBB85_12:                              ;   in Loop: Header=BB85_13 Depth=1
	s_wait_xcnt 0x0
	s_or_b32 exec_lo, exec_lo, s1
	s_add_co_i32 s12, s12, 8
	s_delay_alu instid0(SALU_CYCLE_1)
	s_cmp_lt_i32 s12, s22
	s_cbranch_scc0 .LBB85_35
.LBB85_13:                              ; =>This Loop Header: Depth=1
                                        ;     Child Loop BB85_16 Depth 2
                                        ;       Child Loop BB85_20 Depth 3
	v_dual_mov_b32 v24, 0 :: v_dual_bitop2_b32 v12, s12, v0 bitop3:0x54
	s_delay_alu instid0(VALU_DEP_1)
	v_ashrrev_i32_e32 v13, 31, v12
	s_and_saveexec_b32 s13, s0
	s_cbranch_execz .LBB85_23
; %bb.14:                               ;   in Loop: Header=BB85_13 Depth=1
	s_delay_alu instid0(VALU_DEP_1)
	v_add_nc_u64_e32 v[14:15], s[10:11], v[12:13]
	v_mov_b64_e32 v[16:17], v[8:9]
	v_mov_b32_e32 v24, 0
	s_mov_b32 s20, 0
	v_cmp_gt_i32_e32 vcc_lo, s22, v12
	s_branch .LBB85_16
.LBB85_15:                              ;   in Loop: Header=BB85_16 Depth=2
	s_wait_xcnt 0x0
	s_or_b32 exec_lo, exec_lo, s1
	v_add_nc_u64_e32 v[16:17], 8, v[16:17]
	s_delay_alu instid0(VALU_DEP_1) | instskip(SKIP_1) | instid1(SALU_CYCLE_1)
	v_cmp_ge_i64_e64 s1, v[16:17], v[10:11]
	s_or_b32 s20, s1, s20
	s_and_not1_b32 exec_lo, exec_lo, s20
	s_cbranch_execz .LBB85_22
.LBB85_16:                              ;   Parent Loop BB85_13 Depth=1
                                        ; =>  This Loop Header: Depth=2
                                        ;       Child Loop BB85_20 Depth 3
	s_delay_alu instid0(VALU_DEP_3) | instskip(SKIP_3) | instid1(VALU_DEP_3)
	v_add_nc_u64_e32 v[18:19], v[16:17], v[0:1]
	v_dual_mov_b32 v27, 0 :: v_dual_mov_b32 v25, 0
	v_mov_b32_e32 v26, 0
	s_mov_b32 s23, exec_lo
	v_cmpx_lt_i64_e64 v[18:19], v[10:11]
	s_cbranch_execz .LBB85_18
; %bb.17:                               ;   in Loop: Header=BB85_16 Depth=2
	v_lshlrev_b64_e32 v[18:19], 2, v[18:19]
	s_delay_alu instid0(VALU_DEP_1)
	v_add_nc_u64_e32 v[26:27], s[6:7], v[18:19]
	v_add_nc_u64_e32 v[18:19], v[4:5], v[18:19]
	global_load_b32 v27, v[26:27], off
	v_add_nc_u64_e32 v[28:29], s[4:5], v[18:19]
	s_clause 0x1
	global_load_u8 v25, v[18:19], off
	global_load_u8 v26, v[28:29], off
	s_wait_loadcnt 0x2
	s_wait_xcnt 0x1
	v_subrev_nc_u32_e32 v18, s17, v27
	s_delay_alu instid0(VALU_DEP_1)
	v_lshlrev_b32_e32 v27, 1, v18
.LBB85_18:                              ;   in Loop: Header=BB85_16 Depth=2
	s_wait_xcnt 0x0
	s_or_b32 exec_lo, exec_lo, s23
	ds_store_b32 v21, v27
	s_wait_loadcnt 0x1
	ds_store_b8 v23, v25
	s_wait_loadcnt 0x0
	ds_store_b8 v23, v26 offset:1
	s_wait_dscnt 0x0
	s_barrier_signal -1
	s_barrier_wait -1
	s_and_saveexec_b32 s1, vcc_lo
	s_cbranch_execz .LBB85_15
; %bb.19:                               ;   in Loop: Header=BB85_16 Depth=2
	v_mov_b32_e32 v18, 0
	s_mov_b32 s23, 1
	s_mov_b32 s24, 0
	;; [unrolled: 1-line block ×3, first 2 shown]
.LBB85_20:                              ;   Parent Loop BB85_13 Depth=1
                                        ;     Parent Loop BB85_16 Depth=2
                                        ; =>    This Inner Loop Header: Depth=3
	v_add_nc_u32_e32 v19, s24, v20
	v_mad_u32 v25, s23, 3, v22
	s_add_co_i32 s24, s24, 8
	s_add_co_i32 s23, s23, 2
	ds_load_b64 v[26:27], v19
	v_mad_u32 v19, s25, 3, v22
	s_add_co_i32 s25, s25, 2
	s_cmp_lg_u32 s24, 32
	ds_load_u16 v19, v19
	ds_load_i8 v36, v25
	ds_load_i8 v25, v25 offset:1
	s_wait_dscnt 0x3
	s_wait_xcnt 0x3
	v_mad_nc_u64_u32 v[28:29], s2, v26, v[14:15]
	v_dual_add_nc_u32 v37, 1, v27 :: v_dual_add_nc_u32 v38, 1, v26
	s_wait_xcnt 0x2
	v_mad_nc_u64_u32 v[30:31], s8, v27, v[14:15]
	s_wait_xcnt 0x1
	s_delay_alu instid0(VALU_DEP_2)
	v_mad_nc_u64_u32 v[32:33], s8, v37, v[14:15]
	s_wait_dscnt 0x2
	v_perm_b32 v19, v19, v19, 0xc0c0100
	v_mad_u32 v29, s3, v26, v29
	v_ashrrev_i32_e32 v26, 31, v26
	s_wait_xcnt 0x0
	v_mad_nc_u64_u32 v[34:35], s2, v38, v[14:15]
	v_mad_u32 v31, s9, v27, v31
	v_ashrrev_i32_e32 v27, 31, v27
	s_wait_dscnt 0x0
	v_perm_b32 v25, v25, v36, 0xc0c0400
	v_mad_u32 v33, s9, v37, v33
	v_ashrrev_i32_e32 v37, 31, v37
	v_mad_u32 v29, s2, v26, v29
	v_mad_u32 v35, s3, v38, v35
	v_ashrrev_i32_e32 v38, 31, v38
	v_mad_u32 v31, s8, v27, v31
	v_mad_u32 v33, s8, v37, v33
	s_delay_alu instid0(VALU_DEP_3)
	v_mad_u32 v35, s2, v38, v35
	s_clause 0x3
	global_load_i8 v26, v[28:29], off
	global_load_i8 v27, v[30:31], off
	;; [unrolled: 1-line block ×4, first 2 shown]
	s_wait_loadcnt 0x1
	v_perm_b32 v27, v37, v27, 0xc0c0400
	s_wait_loadcnt 0x0
	v_perm_b32 v26, v38, v26, 0xc0c0400
	s_delay_alu instid0(VALU_DEP_2) | instskip(NEXT) | instid1(VALU_DEP_2)
	v_dot4_i32_iu8 v18, v25, v27, v18 neg_lo:[1,1,0]
	v_dot4_i32_iu8 v24, v19, v26, v24 neg_lo:[1,1,0]
	s_cbranch_scc1 .LBB85_20
; %bb.21:                               ;   in Loop: Header=BB85_16 Depth=2
	s_delay_alu instid0(VALU_DEP_1)
	v_add_nc_u32_e32 v24, v24, v18
	s_branch .LBB85_15
.LBB85_22:                              ;   in Loop: Header=BB85_13 Depth=1
	s_or_b32 exec_lo, exec_lo, s20
.LBB85_23:                              ;   in Loop: Header=BB85_13 Depth=1
	s_delay_alu instid0(SALU_CYCLE_1) | instskip(NEXT) | instid1(SALU_CYCLE_1)
	s_or_b32 exec_lo, exec_lo, s13
	s_mov_b32 s1, exec_lo
	v_cmpx_gt_i32_e64 s22, v12
	s_cbranch_execz .LBB85_12
; %bb.24:                               ;   in Loop: Header=BB85_13 Depth=1
	s_and_b32 vcc_lo, exec_lo, s21
	s_cbranch_vccz .LBB85_30
; %bb.25:                               ;   in Loop: Header=BB85_13 Depth=1
	s_and_b32 vcc_lo, exec_lo, s16
	s_mov_b32 s13, -1
	s_cbranch_vccz .LBB85_27
; %bb.26:                               ;   in Loop: Header=BB85_13 Depth=1
	v_lshl_add_u64 v[14:15], v[12:13], 2, v[6:7]
	v_mul_lo_u32 v17, v24, s18
	s_mov_b32 s13, 0
	global_load_b32 v16, v[14:15], off
	s_wait_loadcnt 0x0
	v_mad_u32 v16, v16, s19, v17
	global_store_b32 v[14:15], v16, off
.LBB85_27:                              ;   in Loop: Header=BB85_13 Depth=1
	s_and_not1_b32 vcc_lo, exec_lo, s13
	s_cbranch_vccnz .LBB85_29
; %bb.28:                               ;   in Loop: Header=BB85_13 Depth=1
	s_wait_xcnt 0x0
	v_mul_u64_e32 v[14:15], s[14:15], v[12:13]
	v_mul_lo_u32 v17, v24, s18
	s_delay_alu instid0(VALU_DEP_2)
	v_lshl_add_u64 v[14:15], v[14:15], 2, v[2:3]
	global_load_b32 v16, v[14:15], off
	s_wait_loadcnt 0x0
	v_mad_u32 v16, v16, s19, v17
	global_store_b32 v[14:15], v16, off
.LBB85_29:                              ;   in Loop: Header=BB85_13 Depth=1
	s_cbranch_execnz .LBB85_12
	s_branch .LBB85_31
.LBB85_30:                              ;   in Loop: Header=BB85_13 Depth=1
.LBB85_31:                              ;   in Loop: Header=BB85_13 Depth=1
	s_wait_xcnt 0x0
	v_mul_lo_u32 v14, v24, s18
	s_and_b32 vcc_lo, exec_lo, s16
	s_mov_b32 s13, -1
	s_cbranch_vccz .LBB85_33
; %bb.32:                               ;   in Loop: Header=BB85_13 Depth=1
	v_lshl_add_u64 v[16:17], v[12:13], 2, v[6:7]
	s_mov_b32 s13, 0
	global_store_b32 v[16:17], v14, off
.LBB85_33:                              ;   in Loop: Header=BB85_13 Depth=1
	s_and_not1_b32 vcc_lo, exec_lo, s13
	s_cbranch_vccnz .LBB85_12
; %bb.34:                               ;   in Loop: Header=BB85_13 Depth=1
	v_mul_u64_e32 v[12:13], s[14:15], v[12:13]
	s_delay_alu instid0(VALU_DEP_1)
	v_lshl_add_u64 v[12:13], v[12:13], 2, v[2:3]
	global_store_b32 v[12:13], v14, off
	s_branch .LBB85_12
.LBB85_35:
	s_endpgm
	.section	.rodata,"a",@progbits
	.p2align	6, 0x0
	.amdhsa_kernel _ZN9rocsparseL29bsrmmnt_small_blockdim_kernelILj64ELj8ELj2EliaaiiEEv20rocsparse_direction_T3_S2_llNS_24const_host_device_scalarIT7_EEPKT2_PKS2_PKT4_PKT5_llS5_PT6_ll16rocsparse_order_21rocsparse_index_base_b
		.amdhsa_group_segment_fixed_size 448
		.amdhsa_private_segment_fixed_size 0
		.amdhsa_kernarg_size 392
		.amdhsa_user_sgpr_count 2
		.amdhsa_user_sgpr_dispatch_ptr 0
		.amdhsa_user_sgpr_queue_ptr 0
		.amdhsa_user_sgpr_kernarg_segment_ptr 1
		.amdhsa_user_sgpr_dispatch_id 0
		.amdhsa_user_sgpr_kernarg_preload_length 0
		.amdhsa_user_sgpr_kernarg_preload_offset 0
		.amdhsa_user_sgpr_private_segment_size 0
		.amdhsa_wavefront_size32 1
		.amdhsa_uses_dynamic_stack 0
		.amdhsa_enable_private_segment 0
		.amdhsa_system_sgpr_workgroup_id_x 1
		.amdhsa_system_sgpr_workgroup_id_y 0
		.amdhsa_system_sgpr_workgroup_id_z 0
		.amdhsa_system_sgpr_workgroup_info 0
		.amdhsa_system_vgpr_workitem_id 0
		.amdhsa_next_free_vgpr 39
		.amdhsa_next_free_sgpr 26
		.amdhsa_named_barrier_count 0
		.amdhsa_reserve_vcc 1
		.amdhsa_float_round_mode_32 0
		.amdhsa_float_round_mode_16_64 0
		.amdhsa_float_denorm_mode_32 3
		.amdhsa_float_denorm_mode_16_64 3
		.amdhsa_fp16_overflow 0
		.amdhsa_memory_ordered 1
		.amdhsa_forward_progress 1
		.amdhsa_inst_pref_size 12
		.amdhsa_round_robin_scheduling 0
		.amdhsa_exception_fp_ieee_invalid_op 0
		.amdhsa_exception_fp_denorm_src 0
		.amdhsa_exception_fp_ieee_div_zero 0
		.amdhsa_exception_fp_ieee_overflow 0
		.amdhsa_exception_fp_ieee_underflow 0
		.amdhsa_exception_fp_ieee_inexact 0
		.amdhsa_exception_int_div_zero 0
	.end_amdhsa_kernel
	.section	.text._ZN9rocsparseL29bsrmmnt_small_blockdim_kernelILj64ELj8ELj2EliaaiiEEv20rocsparse_direction_T3_S2_llNS_24const_host_device_scalarIT7_EEPKT2_PKS2_PKT4_PKT5_llS5_PT6_ll16rocsparse_order_21rocsparse_index_base_b,"axG",@progbits,_ZN9rocsparseL29bsrmmnt_small_blockdim_kernelILj64ELj8ELj2EliaaiiEEv20rocsparse_direction_T3_S2_llNS_24const_host_device_scalarIT7_EEPKT2_PKS2_PKT4_PKT5_llS5_PT6_ll16rocsparse_order_21rocsparse_index_base_b,comdat
.Lfunc_end85:
	.size	_ZN9rocsparseL29bsrmmnt_small_blockdim_kernelILj64ELj8ELj2EliaaiiEEv20rocsparse_direction_T3_S2_llNS_24const_host_device_scalarIT7_EEPKT2_PKS2_PKT4_PKT5_llS5_PT6_ll16rocsparse_order_21rocsparse_index_base_b, .Lfunc_end85-_ZN9rocsparseL29bsrmmnt_small_blockdim_kernelILj64ELj8ELj2EliaaiiEEv20rocsparse_direction_T3_S2_llNS_24const_host_device_scalarIT7_EEPKT2_PKS2_PKT4_PKT5_llS5_PT6_ll16rocsparse_order_21rocsparse_index_base_b
                                        ; -- End function
	.set _ZN9rocsparseL29bsrmmnt_small_blockdim_kernelILj64ELj8ELj2EliaaiiEEv20rocsparse_direction_T3_S2_llNS_24const_host_device_scalarIT7_EEPKT2_PKS2_PKT4_PKT5_llS5_PT6_ll16rocsparse_order_21rocsparse_index_base_b.num_vgpr, 39
	.set _ZN9rocsparseL29bsrmmnt_small_blockdim_kernelILj64ELj8ELj2EliaaiiEEv20rocsparse_direction_T3_S2_llNS_24const_host_device_scalarIT7_EEPKT2_PKS2_PKT4_PKT5_llS5_PT6_ll16rocsparse_order_21rocsparse_index_base_b.num_agpr, 0
	.set _ZN9rocsparseL29bsrmmnt_small_blockdim_kernelILj64ELj8ELj2EliaaiiEEv20rocsparse_direction_T3_S2_llNS_24const_host_device_scalarIT7_EEPKT2_PKS2_PKT4_PKT5_llS5_PT6_ll16rocsparse_order_21rocsparse_index_base_b.numbered_sgpr, 26
	.set _ZN9rocsparseL29bsrmmnt_small_blockdim_kernelILj64ELj8ELj2EliaaiiEEv20rocsparse_direction_T3_S2_llNS_24const_host_device_scalarIT7_EEPKT2_PKS2_PKT4_PKT5_llS5_PT6_ll16rocsparse_order_21rocsparse_index_base_b.num_named_barrier, 0
	.set _ZN9rocsparseL29bsrmmnt_small_blockdim_kernelILj64ELj8ELj2EliaaiiEEv20rocsparse_direction_T3_S2_llNS_24const_host_device_scalarIT7_EEPKT2_PKS2_PKT4_PKT5_llS5_PT6_ll16rocsparse_order_21rocsparse_index_base_b.private_seg_size, 0
	.set _ZN9rocsparseL29bsrmmnt_small_blockdim_kernelILj64ELj8ELj2EliaaiiEEv20rocsparse_direction_T3_S2_llNS_24const_host_device_scalarIT7_EEPKT2_PKS2_PKT4_PKT5_llS5_PT6_ll16rocsparse_order_21rocsparse_index_base_b.uses_vcc, 1
	.set _ZN9rocsparseL29bsrmmnt_small_blockdim_kernelILj64ELj8ELj2EliaaiiEEv20rocsparse_direction_T3_S2_llNS_24const_host_device_scalarIT7_EEPKT2_PKS2_PKT4_PKT5_llS5_PT6_ll16rocsparse_order_21rocsparse_index_base_b.uses_flat_scratch, 0
	.set _ZN9rocsparseL29bsrmmnt_small_blockdim_kernelILj64ELj8ELj2EliaaiiEEv20rocsparse_direction_T3_S2_llNS_24const_host_device_scalarIT7_EEPKT2_PKS2_PKT4_PKT5_llS5_PT6_ll16rocsparse_order_21rocsparse_index_base_b.has_dyn_sized_stack, 0
	.set _ZN9rocsparseL29bsrmmnt_small_blockdim_kernelILj64ELj8ELj2EliaaiiEEv20rocsparse_direction_T3_S2_llNS_24const_host_device_scalarIT7_EEPKT2_PKS2_PKT4_PKT5_llS5_PT6_ll16rocsparse_order_21rocsparse_index_base_b.has_recursion, 0
	.set _ZN9rocsparseL29bsrmmnt_small_blockdim_kernelILj64ELj8ELj2EliaaiiEEv20rocsparse_direction_T3_S2_llNS_24const_host_device_scalarIT7_EEPKT2_PKS2_PKT4_PKT5_llS5_PT6_ll16rocsparse_order_21rocsparse_index_base_b.has_indirect_call, 0
	.section	.AMDGPU.csdata,"",@progbits
; Kernel info:
; codeLenInByte = 1516
; TotalNumSgprs: 28
; NumVgprs: 39
; ScratchSize: 0
; MemoryBound: 0
; FloatMode: 240
; IeeeMode: 1
; LDSByteSize: 448 bytes/workgroup (compile time only)
; SGPRBlocks: 0
; VGPRBlocks: 2
; NumSGPRsForWavesPerEU: 28
; NumVGPRsForWavesPerEU: 39
; NamedBarCnt: 0
; Occupancy: 16
; WaveLimiterHint : 0
; COMPUTE_PGM_RSRC2:SCRATCH_EN: 0
; COMPUTE_PGM_RSRC2:USER_SGPR: 2
; COMPUTE_PGM_RSRC2:TRAP_HANDLER: 0
; COMPUTE_PGM_RSRC2:TGID_X_EN: 1
; COMPUTE_PGM_RSRC2:TGID_Y_EN: 0
; COMPUTE_PGM_RSRC2:TGID_Z_EN: 0
; COMPUTE_PGM_RSRC2:TIDIG_COMP_CNT: 0
	.section	.text._ZN9rocsparseL29bsrmmnt_small_blockdim_kernelILj64ELj16ELj2EliaaiiEEv20rocsparse_direction_T3_S2_llNS_24const_host_device_scalarIT7_EEPKT2_PKS2_PKT4_PKT5_llS5_PT6_ll16rocsparse_order_21rocsparse_index_base_b,"axG",@progbits,_ZN9rocsparseL29bsrmmnt_small_blockdim_kernelILj64ELj16ELj2EliaaiiEEv20rocsparse_direction_T3_S2_llNS_24const_host_device_scalarIT7_EEPKT2_PKS2_PKT4_PKT5_llS5_PT6_ll16rocsparse_order_21rocsparse_index_base_b,comdat
	.globl	_ZN9rocsparseL29bsrmmnt_small_blockdim_kernelILj64ELj16ELj2EliaaiiEEv20rocsparse_direction_T3_S2_llNS_24const_host_device_scalarIT7_EEPKT2_PKS2_PKT4_PKT5_llS5_PT6_ll16rocsparse_order_21rocsparse_index_base_b ; -- Begin function _ZN9rocsparseL29bsrmmnt_small_blockdim_kernelILj64ELj16ELj2EliaaiiEEv20rocsparse_direction_T3_S2_llNS_24const_host_device_scalarIT7_EEPKT2_PKS2_PKT4_PKT5_llS5_PT6_ll16rocsparse_order_21rocsparse_index_base_b
	.p2align	8
	.type	_ZN9rocsparseL29bsrmmnt_small_blockdim_kernelILj64ELj16ELj2EliaaiiEEv20rocsparse_direction_T3_S2_llNS_24const_host_device_scalarIT7_EEPKT2_PKS2_PKT4_PKT5_llS5_PT6_ll16rocsparse_order_21rocsparse_index_base_b,@function
_ZN9rocsparseL29bsrmmnt_small_blockdim_kernelILj64ELj16ELj2EliaaiiEEv20rocsparse_direction_T3_S2_llNS_24const_host_device_scalarIT7_EEPKT2_PKS2_PKT4_PKT5_llS5_PT6_ll16rocsparse_order_21rocsparse_index_base_b: ; @_ZN9rocsparseL29bsrmmnt_small_blockdim_kernelILj64ELj16ELj2EliaaiiEEv20rocsparse_direction_T3_S2_llNS_24const_host_device_scalarIT7_EEPKT2_PKS2_PKT4_PKT5_llS5_PT6_ll16rocsparse_order_21rocsparse_index_base_b
; %bb.0:
	s_clause 0x1
	s_load_b96 s[16:18], s[0:1], 0x78
	s_load_b64 s[4:5], s[0:1], 0x20
	s_mov_b32 s7, -1
	s_wait_kmcnt 0x0
	s_bitcmp1_b32 s18, 0
                                        ; implicit-def: $sgpr18
	s_cselect_b32 s2, -1, 0
	s_delay_alu instid0(SALU_CYCLE_1) | instskip(NEXT) | instid1(SALU_CYCLE_1)
	s_xor_b32 s6, s2, -1
	s_and_b32 vcc_lo, exec_lo, s6
	s_cbranch_vccnz .LBB86_4
; %bb.1:
	s_load_b64 s[2:3], s[0:1], 0x58
	s_and_not1_b32 vcc_lo, exec_lo, s7
	s_cbranch_vccz .LBB86_5
.LBB86_2:
	s_and_b32 vcc_lo, exec_lo, s6
	s_cbranch_vccz .LBB86_6
.LBB86_3:
	s_wait_kmcnt 0x0
	s_load_b32 s19, s[2:3], 0x0
	s_wait_xcnt 0x0
	s_cbranch_execz .LBB86_7
	s_branch .LBB86_8
.LBB86_4:
	s_load_b32 s18, s[4:5], 0x0
	s_load_b64 s[2:3], s[0:1], 0x58
	s_cbranch_execnz .LBB86_2
.LBB86_5:
	s_wait_kmcnt 0x0
	s_mov_b32 s18, s4
	s_and_b32 vcc_lo, exec_lo, s6
	s_cbranch_vccnz .LBB86_3
.LBB86_6:
	s_wait_kmcnt 0x0
                                        ; implicit-def: $sgpr19
.LBB86_7:
	s_wait_kmcnt 0x0
	s_mov_b32 s19, s2
.LBB86_8:
	s_cmp_eq_u32 s18, 0
	s_cselect_b32 s2, -1, 0
	s_wait_kmcnt 0x0
	s_cmp_eq_u32 s19, 1
	s_cselect_b32 s3, -1, 0
	s_delay_alu instid0(SALU_CYCLE_1) | instskip(NEXT) | instid1(SALU_CYCLE_1)
	s_and_b32 s2, s2, s3
	s_and_b32 vcc_lo, exec_lo, s2
	s_cbranch_vccnz .LBB86_35
; %bb.9:
	s_clause 0x1
	s_load_b32 s2, s[0:1], 0x94
	s_load_b96 s[20:22], s[0:1], 0x0
	s_bfe_u32 s3, ttmp6, 0x4000c
	s_and_b32 s4, ttmp6, 15
	s_add_co_i32 s3, s3, 1
	s_getreg_b32 s5, hwreg(HW_REG_IB_STS2, 6, 4)
	s_mul_i32 s3, ttmp9, s3
	s_delay_alu instid0(SALU_CYCLE_1) | instskip(SKIP_4) | instid1(SALU_CYCLE_1)
	s_add_co_i32 s4, s4, s3
	s_wait_kmcnt 0x0
	s_and_b32 s2, s2, 0xffff
	s_cmp_eq_u32 s5, 0
	s_cselect_b32 s3, ttmp9, s4
	v_mad_u32 v2, s3, s2, v0
	s_mov_b32 s2, exec_lo
	s_delay_alu instid0(VALU_DEP_1) | instskip(NEXT) | instid1(VALU_DEP_1)
	v_lshrrev_b32_e32 v1, 5, v2
	v_cmpx_gt_i32_e64 s21, v1
	s_cbranch_execz .LBB86_35
; %bb.10:
	s_cmp_lt_i32 s22, 1
	s_cbranch_scc1 .LBB86_35
; %bb.11:
	s_load_b256 s[4:11], s[0:1], 0x28
	v_dual_lshlrev_b32 v1, 3, v1 :: v_dual_lshrrev_b32 v4, 4, v2
	s_clause 0x1
	s_load_b128 s[12:15], s[0:1], 0x60
	s_load_b64 s[2:3], s[0:1], 0x48
	v_bfe_u32 v8, v2, 4, 1
	s_cmp_lg_u32 s19, 0
	v_lshrrev_b32_e32 v2, 4, v0
	s_cselect_b32 s21, -1, 0
	s_cmp_lg_u32 s16, 1
	v_and_b32_e32 v0, 15, v0
	s_cselect_b32 s16, -1, 0
	s_cmp_eq_u32 s20, 0
	v_mul_u32_u24_e32 v10, 48, v2
	s_wait_xcnt 0x0
	s_cselect_b32 s1, -1, 0
	v_dual_lshlrev_b32 v20, 6, v2 :: v_dual_lshlrev_b32 v2, 2, v4
	v_cndmask_b32_e64 v9, 0, 1, s1
	s_and_b32 s1, s1, exec_lo
	v_mul_u32_u24_e32 v16, 3, v0
	s_wait_kmcnt 0x0
	global_load_b128 v[12:15], v1, s[4:5]
	s_wait_xcnt 0x0
	v_mov_b32_e32 v1, 0
	v_or_b32_e32 v22, 0x100, v10
	s_mov_b32 s5, 0
	s_mov_b32 s4, s17
	v_lshl_or_b32 v21, v0, 2, v20
	v_dual_mov_b32 v5, v1 :: v_dual_mov_b32 v3, v1
	v_add_nc_u32_e32 v23, v22, v16
	s_delay_alu instid0(VALU_DEP_2) | instskip(SKIP_1) | instid1(VALU_DEP_4)
	v_mul_u64_e32 v[6:7], s[14:15], v[4:5]
	v_lshlrev_b32_e32 v4, v9, v8
	v_add_nc_u64_e32 v[2:3], s[12:13], v[2:3]
	s_delay_alu instid0(VALU_DEP_2) | instskip(SKIP_2) | instid1(VALU_DEP_4)
	v_add_nc_u64_e32 v[4:5], s[8:9], v[4:5]
	s_mov_b32 s8, s2
	s_mov_b32 s9, s3
	v_lshl_add_u64 v[6:7], v[6:7], 2, s[12:13]
	s_mov_b32 s12, s5
	s_wait_loadcnt 0x0
	v_sub_nc_u64_e64 v[8:9], v[12:13], s[4:5]
	v_sub_nc_u64_e64 v[10:11], v[14:15], s[4:5]
	v_cmp_lt_i64_e64 s0, v[12:13], v[14:15]
	s_cselect_b32 s4, 1, 2
	s_branch .LBB86_13
.LBB86_12:                              ;   in Loop: Header=BB86_13 Depth=1
	s_wait_xcnt 0x0
	s_or_b32 exec_lo, exec_lo, s1
	s_add_co_i32 s12, s12, 16
	s_delay_alu instid0(SALU_CYCLE_1)
	s_cmp_lt_i32 s12, s22
	s_cbranch_scc0 .LBB86_35
.LBB86_13:                              ; =>This Loop Header: Depth=1
                                        ;     Child Loop BB86_16 Depth 2
                                        ;       Child Loop BB86_20 Depth 3
	v_dual_mov_b32 v24, 0 :: v_dual_bitop2_b32 v12, s12, v0 bitop3:0x54
	s_delay_alu instid0(VALU_DEP_1)
	v_ashrrev_i32_e32 v13, 31, v12
	s_and_saveexec_b32 s13, s0
	s_cbranch_execz .LBB86_23
; %bb.14:                               ;   in Loop: Header=BB86_13 Depth=1
	s_delay_alu instid0(VALU_DEP_1)
	v_add_nc_u64_e32 v[14:15], s[10:11], v[12:13]
	v_mov_b64_e32 v[16:17], v[8:9]
	v_mov_b32_e32 v24, 0
	s_mov_b32 s20, 0
	v_cmp_gt_i32_e32 vcc_lo, s22, v12
	s_branch .LBB86_16
.LBB86_15:                              ;   in Loop: Header=BB86_16 Depth=2
	s_wait_xcnt 0x0
	s_or_b32 exec_lo, exec_lo, s1
	v_add_nc_u64_e32 v[16:17], 16, v[16:17]
	s_delay_alu instid0(VALU_DEP_1) | instskip(SKIP_1) | instid1(SALU_CYCLE_1)
	v_cmp_ge_i64_e64 s1, v[16:17], v[10:11]
	s_or_b32 s20, s1, s20
	s_and_not1_b32 exec_lo, exec_lo, s20
	s_cbranch_execz .LBB86_22
.LBB86_16:                              ;   Parent Loop BB86_13 Depth=1
                                        ; =>  This Loop Header: Depth=2
                                        ;       Child Loop BB86_20 Depth 3
	s_delay_alu instid0(VALU_DEP_3) | instskip(SKIP_3) | instid1(VALU_DEP_3)
	v_add_nc_u64_e32 v[18:19], v[16:17], v[0:1]
	v_dual_mov_b32 v27, 0 :: v_dual_mov_b32 v25, 0
	v_mov_b32_e32 v26, 0
	s_mov_b32 s23, exec_lo
	v_cmpx_lt_i64_e64 v[18:19], v[10:11]
	s_cbranch_execz .LBB86_18
; %bb.17:                               ;   in Loop: Header=BB86_16 Depth=2
	v_lshlrev_b64_e32 v[18:19], 2, v[18:19]
	s_delay_alu instid0(VALU_DEP_1)
	v_add_nc_u64_e32 v[26:27], s[6:7], v[18:19]
	v_add_nc_u64_e32 v[18:19], v[4:5], v[18:19]
	global_load_b32 v27, v[26:27], off
	v_add_nc_u64_e32 v[28:29], s[4:5], v[18:19]
	s_clause 0x1
	global_load_u8 v25, v[18:19], off
	global_load_u8 v26, v[28:29], off
	s_wait_loadcnt 0x2
	s_wait_xcnt 0x1
	v_subrev_nc_u32_e32 v18, s17, v27
	s_delay_alu instid0(VALU_DEP_1)
	v_lshlrev_b32_e32 v27, 1, v18
.LBB86_18:                              ;   in Loop: Header=BB86_16 Depth=2
	s_wait_xcnt 0x0
	s_or_b32 exec_lo, exec_lo, s23
	ds_store_b32 v21, v27
	s_wait_loadcnt 0x1
	ds_store_b8 v23, v25
	s_wait_loadcnt 0x0
	ds_store_b8 v23, v26 offset:1
	s_wait_dscnt 0x0
	s_barrier_signal -1
	s_barrier_wait -1
	s_and_saveexec_b32 s1, vcc_lo
	s_cbranch_execz .LBB86_15
; %bb.19:                               ;   in Loop: Header=BB86_16 Depth=2
	v_mov_b32_e32 v18, 0
	s_mov_b32 s23, 1
	s_mov_b32 s24, 0
	;; [unrolled: 1-line block ×3, first 2 shown]
.LBB86_20:                              ;   Parent Loop BB86_13 Depth=1
                                        ;     Parent Loop BB86_16 Depth=2
                                        ; =>    This Inner Loop Header: Depth=3
	v_add_nc_u32_e32 v19, s24, v20
	v_mad_u32 v25, s23, 3, v22
	s_add_co_i32 s24, s24, 8
	s_add_co_i32 s23, s23, 2
	ds_load_b64 v[26:27], v19
	v_mad_u32 v19, s25, 3, v22
	s_add_co_i32 s25, s25, 2
	s_cmp_lg_u32 s24, 64
	ds_load_u16 v19, v19
	ds_load_i8 v36, v25
	ds_load_i8 v25, v25 offset:1
	s_wait_dscnt 0x3
	s_wait_xcnt 0x3
	v_mad_nc_u64_u32 v[28:29], s2, v26, v[14:15]
	v_dual_add_nc_u32 v37, 1, v27 :: v_dual_add_nc_u32 v38, 1, v26
	s_wait_xcnt 0x2
	v_mad_nc_u64_u32 v[30:31], s8, v27, v[14:15]
	s_wait_xcnt 0x1
	s_delay_alu instid0(VALU_DEP_2)
	v_mad_nc_u64_u32 v[32:33], s8, v37, v[14:15]
	s_wait_dscnt 0x2
	v_perm_b32 v19, v19, v19, 0xc0c0100
	v_mad_u32 v29, s3, v26, v29
	v_ashrrev_i32_e32 v26, 31, v26
	s_wait_xcnt 0x0
	v_mad_nc_u64_u32 v[34:35], s2, v38, v[14:15]
	v_mad_u32 v31, s9, v27, v31
	v_ashrrev_i32_e32 v27, 31, v27
	s_wait_dscnt 0x0
	v_perm_b32 v25, v25, v36, 0xc0c0400
	v_mad_u32 v33, s9, v37, v33
	v_ashrrev_i32_e32 v37, 31, v37
	v_mad_u32 v29, s2, v26, v29
	v_mad_u32 v35, s3, v38, v35
	v_ashrrev_i32_e32 v38, 31, v38
	v_mad_u32 v31, s8, v27, v31
	v_mad_u32 v33, s8, v37, v33
	s_delay_alu instid0(VALU_DEP_3)
	v_mad_u32 v35, s2, v38, v35
	s_clause 0x3
	global_load_i8 v26, v[28:29], off
	global_load_i8 v27, v[30:31], off
	;; [unrolled: 1-line block ×4, first 2 shown]
	s_wait_loadcnt 0x1
	v_perm_b32 v27, v37, v27, 0xc0c0400
	s_wait_loadcnt 0x0
	v_perm_b32 v26, v38, v26, 0xc0c0400
	s_delay_alu instid0(VALU_DEP_2) | instskip(NEXT) | instid1(VALU_DEP_2)
	v_dot4_i32_iu8 v18, v25, v27, v18 neg_lo:[1,1,0]
	v_dot4_i32_iu8 v24, v19, v26, v24 neg_lo:[1,1,0]
	s_cbranch_scc1 .LBB86_20
; %bb.21:                               ;   in Loop: Header=BB86_16 Depth=2
	s_delay_alu instid0(VALU_DEP_1)
	v_add_nc_u32_e32 v24, v24, v18
	s_branch .LBB86_15
.LBB86_22:                              ;   in Loop: Header=BB86_13 Depth=1
	s_or_b32 exec_lo, exec_lo, s20
.LBB86_23:                              ;   in Loop: Header=BB86_13 Depth=1
	s_delay_alu instid0(SALU_CYCLE_1) | instskip(NEXT) | instid1(SALU_CYCLE_1)
	s_or_b32 exec_lo, exec_lo, s13
	s_mov_b32 s1, exec_lo
	v_cmpx_gt_i32_e64 s22, v12
	s_cbranch_execz .LBB86_12
; %bb.24:                               ;   in Loop: Header=BB86_13 Depth=1
	s_and_b32 vcc_lo, exec_lo, s21
	s_cbranch_vccz .LBB86_30
; %bb.25:                               ;   in Loop: Header=BB86_13 Depth=1
	s_and_b32 vcc_lo, exec_lo, s16
	s_mov_b32 s13, -1
	s_cbranch_vccz .LBB86_27
; %bb.26:                               ;   in Loop: Header=BB86_13 Depth=1
	v_lshl_add_u64 v[14:15], v[12:13], 2, v[6:7]
	v_mul_lo_u32 v17, v24, s18
	s_mov_b32 s13, 0
	global_load_b32 v16, v[14:15], off
	s_wait_loadcnt 0x0
	v_mad_u32 v16, v16, s19, v17
	global_store_b32 v[14:15], v16, off
.LBB86_27:                              ;   in Loop: Header=BB86_13 Depth=1
	s_and_not1_b32 vcc_lo, exec_lo, s13
	s_cbranch_vccnz .LBB86_29
; %bb.28:                               ;   in Loop: Header=BB86_13 Depth=1
	s_wait_xcnt 0x0
	v_mul_u64_e32 v[14:15], s[14:15], v[12:13]
	v_mul_lo_u32 v17, v24, s18
	s_delay_alu instid0(VALU_DEP_2)
	v_lshl_add_u64 v[14:15], v[14:15], 2, v[2:3]
	global_load_b32 v16, v[14:15], off
	s_wait_loadcnt 0x0
	v_mad_u32 v16, v16, s19, v17
	global_store_b32 v[14:15], v16, off
.LBB86_29:                              ;   in Loop: Header=BB86_13 Depth=1
	s_cbranch_execnz .LBB86_12
	s_branch .LBB86_31
.LBB86_30:                              ;   in Loop: Header=BB86_13 Depth=1
.LBB86_31:                              ;   in Loop: Header=BB86_13 Depth=1
	s_wait_xcnt 0x0
	v_mul_lo_u32 v14, v24, s18
	s_and_b32 vcc_lo, exec_lo, s16
	s_mov_b32 s13, -1
	s_cbranch_vccz .LBB86_33
; %bb.32:                               ;   in Loop: Header=BB86_13 Depth=1
	v_lshl_add_u64 v[16:17], v[12:13], 2, v[6:7]
	s_mov_b32 s13, 0
	global_store_b32 v[16:17], v14, off
.LBB86_33:                              ;   in Loop: Header=BB86_13 Depth=1
	s_and_not1_b32 vcc_lo, exec_lo, s13
	s_cbranch_vccnz .LBB86_12
; %bb.34:                               ;   in Loop: Header=BB86_13 Depth=1
	v_mul_u64_e32 v[12:13], s[14:15], v[12:13]
	s_delay_alu instid0(VALU_DEP_1)
	v_lshl_add_u64 v[12:13], v[12:13], 2, v[2:3]
	global_store_b32 v[12:13], v14, off
	s_branch .LBB86_12
.LBB86_35:
	s_endpgm
	.section	.rodata,"a",@progbits
	.p2align	6, 0x0
	.amdhsa_kernel _ZN9rocsparseL29bsrmmnt_small_blockdim_kernelILj64ELj16ELj2EliaaiiEEv20rocsparse_direction_T3_S2_llNS_24const_host_device_scalarIT7_EEPKT2_PKS2_PKT4_PKT5_llS5_PT6_ll16rocsparse_order_21rocsparse_index_base_b
		.amdhsa_group_segment_fixed_size 448
		.amdhsa_private_segment_fixed_size 0
		.amdhsa_kernarg_size 392
		.amdhsa_user_sgpr_count 2
		.amdhsa_user_sgpr_dispatch_ptr 0
		.amdhsa_user_sgpr_queue_ptr 0
		.amdhsa_user_sgpr_kernarg_segment_ptr 1
		.amdhsa_user_sgpr_dispatch_id 0
		.amdhsa_user_sgpr_kernarg_preload_length 0
		.amdhsa_user_sgpr_kernarg_preload_offset 0
		.amdhsa_user_sgpr_private_segment_size 0
		.amdhsa_wavefront_size32 1
		.amdhsa_uses_dynamic_stack 0
		.amdhsa_enable_private_segment 0
		.amdhsa_system_sgpr_workgroup_id_x 1
		.amdhsa_system_sgpr_workgroup_id_y 0
		.amdhsa_system_sgpr_workgroup_id_z 0
		.amdhsa_system_sgpr_workgroup_info 0
		.amdhsa_system_vgpr_workitem_id 0
		.amdhsa_next_free_vgpr 39
		.amdhsa_next_free_sgpr 26
		.amdhsa_named_barrier_count 0
		.amdhsa_reserve_vcc 1
		.amdhsa_float_round_mode_32 0
		.amdhsa_float_round_mode_16_64 0
		.amdhsa_float_denorm_mode_32 3
		.amdhsa_float_denorm_mode_16_64 3
		.amdhsa_fp16_overflow 0
		.amdhsa_memory_ordered 1
		.amdhsa_forward_progress 1
		.amdhsa_inst_pref_size 12
		.amdhsa_round_robin_scheduling 0
		.amdhsa_exception_fp_ieee_invalid_op 0
		.amdhsa_exception_fp_denorm_src 0
		.amdhsa_exception_fp_ieee_div_zero 0
		.amdhsa_exception_fp_ieee_overflow 0
		.amdhsa_exception_fp_ieee_underflow 0
		.amdhsa_exception_fp_ieee_inexact 0
		.amdhsa_exception_int_div_zero 0
	.end_amdhsa_kernel
	.section	.text._ZN9rocsparseL29bsrmmnt_small_blockdim_kernelILj64ELj16ELj2EliaaiiEEv20rocsparse_direction_T3_S2_llNS_24const_host_device_scalarIT7_EEPKT2_PKS2_PKT4_PKT5_llS5_PT6_ll16rocsparse_order_21rocsparse_index_base_b,"axG",@progbits,_ZN9rocsparseL29bsrmmnt_small_blockdim_kernelILj64ELj16ELj2EliaaiiEEv20rocsparse_direction_T3_S2_llNS_24const_host_device_scalarIT7_EEPKT2_PKS2_PKT4_PKT5_llS5_PT6_ll16rocsparse_order_21rocsparse_index_base_b,comdat
.Lfunc_end86:
	.size	_ZN9rocsparseL29bsrmmnt_small_blockdim_kernelILj64ELj16ELj2EliaaiiEEv20rocsparse_direction_T3_S2_llNS_24const_host_device_scalarIT7_EEPKT2_PKS2_PKT4_PKT5_llS5_PT6_ll16rocsparse_order_21rocsparse_index_base_b, .Lfunc_end86-_ZN9rocsparseL29bsrmmnt_small_blockdim_kernelILj64ELj16ELj2EliaaiiEEv20rocsparse_direction_T3_S2_llNS_24const_host_device_scalarIT7_EEPKT2_PKS2_PKT4_PKT5_llS5_PT6_ll16rocsparse_order_21rocsparse_index_base_b
                                        ; -- End function
	.set _ZN9rocsparseL29bsrmmnt_small_blockdim_kernelILj64ELj16ELj2EliaaiiEEv20rocsparse_direction_T3_S2_llNS_24const_host_device_scalarIT7_EEPKT2_PKS2_PKT4_PKT5_llS5_PT6_ll16rocsparse_order_21rocsparse_index_base_b.num_vgpr, 39
	.set _ZN9rocsparseL29bsrmmnt_small_blockdim_kernelILj64ELj16ELj2EliaaiiEEv20rocsparse_direction_T3_S2_llNS_24const_host_device_scalarIT7_EEPKT2_PKS2_PKT4_PKT5_llS5_PT6_ll16rocsparse_order_21rocsparse_index_base_b.num_agpr, 0
	.set _ZN9rocsparseL29bsrmmnt_small_blockdim_kernelILj64ELj16ELj2EliaaiiEEv20rocsparse_direction_T3_S2_llNS_24const_host_device_scalarIT7_EEPKT2_PKS2_PKT4_PKT5_llS5_PT6_ll16rocsparse_order_21rocsparse_index_base_b.numbered_sgpr, 26
	.set _ZN9rocsparseL29bsrmmnt_small_blockdim_kernelILj64ELj16ELj2EliaaiiEEv20rocsparse_direction_T3_S2_llNS_24const_host_device_scalarIT7_EEPKT2_PKS2_PKT4_PKT5_llS5_PT6_ll16rocsparse_order_21rocsparse_index_base_b.num_named_barrier, 0
	.set _ZN9rocsparseL29bsrmmnt_small_blockdim_kernelILj64ELj16ELj2EliaaiiEEv20rocsparse_direction_T3_S2_llNS_24const_host_device_scalarIT7_EEPKT2_PKS2_PKT4_PKT5_llS5_PT6_ll16rocsparse_order_21rocsparse_index_base_b.private_seg_size, 0
	.set _ZN9rocsparseL29bsrmmnt_small_blockdim_kernelILj64ELj16ELj2EliaaiiEEv20rocsparse_direction_T3_S2_llNS_24const_host_device_scalarIT7_EEPKT2_PKS2_PKT4_PKT5_llS5_PT6_ll16rocsparse_order_21rocsparse_index_base_b.uses_vcc, 1
	.set _ZN9rocsparseL29bsrmmnt_small_blockdim_kernelILj64ELj16ELj2EliaaiiEEv20rocsparse_direction_T3_S2_llNS_24const_host_device_scalarIT7_EEPKT2_PKS2_PKT4_PKT5_llS5_PT6_ll16rocsparse_order_21rocsparse_index_base_b.uses_flat_scratch, 0
	.set _ZN9rocsparseL29bsrmmnt_small_blockdim_kernelILj64ELj16ELj2EliaaiiEEv20rocsparse_direction_T3_S2_llNS_24const_host_device_scalarIT7_EEPKT2_PKS2_PKT4_PKT5_llS5_PT6_ll16rocsparse_order_21rocsparse_index_base_b.has_dyn_sized_stack, 0
	.set _ZN9rocsparseL29bsrmmnt_small_blockdim_kernelILj64ELj16ELj2EliaaiiEEv20rocsparse_direction_T3_S2_llNS_24const_host_device_scalarIT7_EEPKT2_PKS2_PKT4_PKT5_llS5_PT6_ll16rocsparse_order_21rocsparse_index_base_b.has_recursion, 0
	.set _ZN9rocsparseL29bsrmmnt_small_blockdim_kernelILj64ELj16ELj2EliaaiiEEv20rocsparse_direction_T3_S2_llNS_24const_host_device_scalarIT7_EEPKT2_PKS2_PKT4_PKT5_llS5_PT6_ll16rocsparse_order_21rocsparse_index_base_b.has_indirect_call, 0
	.section	.AMDGPU.csdata,"",@progbits
; Kernel info:
; codeLenInByte = 1516
; TotalNumSgprs: 28
; NumVgprs: 39
; ScratchSize: 0
; MemoryBound: 0
; FloatMode: 240
; IeeeMode: 1
; LDSByteSize: 448 bytes/workgroup (compile time only)
; SGPRBlocks: 0
; VGPRBlocks: 2
; NumSGPRsForWavesPerEU: 28
; NumVGPRsForWavesPerEU: 39
; NamedBarCnt: 0
; Occupancy: 16
; WaveLimiterHint : 0
; COMPUTE_PGM_RSRC2:SCRATCH_EN: 0
; COMPUTE_PGM_RSRC2:USER_SGPR: 2
; COMPUTE_PGM_RSRC2:TRAP_HANDLER: 0
; COMPUTE_PGM_RSRC2:TGID_X_EN: 1
; COMPUTE_PGM_RSRC2:TGID_Y_EN: 0
; COMPUTE_PGM_RSRC2:TGID_Z_EN: 0
; COMPUTE_PGM_RSRC2:TIDIG_COMP_CNT: 0
	.section	.text._ZN9rocsparseL29bsrmmnt_small_blockdim_kernelILj64ELj32ELj2EliaaiiEEv20rocsparse_direction_T3_S2_llNS_24const_host_device_scalarIT7_EEPKT2_PKS2_PKT4_PKT5_llS5_PT6_ll16rocsparse_order_21rocsparse_index_base_b,"axG",@progbits,_ZN9rocsparseL29bsrmmnt_small_blockdim_kernelILj64ELj32ELj2EliaaiiEEv20rocsparse_direction_T3_S2_llNS_24const_host_device_scalarIT7_EEPKT2_PKS2_PKT4_PKT5_llS5_PT6_ll16rocsparse_order_21rocsparse_index_base_b,comdat
	.globl	_ZN9rocsparseL29bsrmmnt_small_blockdim_kernelILj64ELj32ELj2EliaaiiEEv20rocsparse_direction_T3_S2_llNS_24const_host_device_scalarIT7_EEPKT2_PKS2_PKT4_PKT5_llS5_PT6_ll16rocsparse_order_21rocsparse_index_base_b ; -- Begin function _ZN9rocsparseL29bsrmmnt_small_blockdim_kernelILj64ELj32ELj2EliaaiiEEv20rocsparse_direction_T3_S2_llNS_24const_host_device_scalarIT7_EEPKT2_PKS2_PKT4_PKT5_llS5_PT6_ll16rocsparse_order_21rocsparse_index_base_b
	.p2align	8
	.type	_ZN9rocsparseL29bsrmmnt_small_blockdim_kernelILj64ELj32ELj2EliaaiiEEv20rocsparse_direction_T3_S2_llNS_24const_host_device_scalarIT7_EEPKT2_PKS2_PKT4_PKT5_llS5_PT6_ll16rocsparse_order_21rocsparse_index_base_b,@function
_ZN9rocsparseL29bsrmmnt_small_blockdim_kernelILj64ELj32ELj2EliaaiiEEv20rocsparse_direction_T3_S2_llNS_24const_host_device_scalarIT7_EEPKT2_PKS2_PKT4_PKT5_llS5_PT6_ll16rocsparse_order_21rocsparse_index_base_b: ; @_ZN9rocsparseL29bsrmmnt_small_blockdim_kernelILj64ELj32ELj2EliaaiiEEv20rocsparse_direction_T3_S2_llNS_24const_host_device_scalarIT7_EEPKT2_PKS2_PKT4_PKT5_llS5_PT6_ll16rocsparse_order_21rocsparse_index_base_b
; %bb.0:
	s_clause 0x1
	s_load_b96 s[16:18], s[0:1], 0x78
	s_load_b64 s[4:5], s[0:1], 0x20
	s_mov_b32 s7, -1
	s_wait_kmcnt 0x0
	s_bitcmp1_b32 s18, 0
                                        ; implicit-def: $sgpr18
	s_cselect_b32 s2, -1, 0
	s_delay_alu instid0(SALU_CYCLE_1) | instskip(NEXT) | instid1(SALU_CYCLE_1)
	s_xor_b32 s6, s2, -1
	s_and_b32 vcc_lo, exec_lo, s6
	s_cbranch_vccnz .LBB87_4
; %bb.1:
	s_load_b64 s[2:3], s[0:1], 0x58
	s_and_not1_b32 vcc_lo, exec_lo, s7
	s_cbranch_vccz .LBB87_5
.LBB87_2:
	s_and_b32 vcc_lo, exec_lo, s6
	s_cbranch_vccz .LBB87_6
.LBB87_3:
	s_wait_kmcnt 0x0
	s_load_b32 s19, s[2:3], 0x0
	s_wait_xcnt 0x0
	s_cbranch_execz .LBB87_7
	s_branch .LBB87_8
.LBB87_4:
	s_load_b32 s18, s[4:5], 0x0
	s_load_b64 s[2:3], s[0:1], 0x58
	s_cbranch_execnz .LBB87_2
.LBB87_5:
	s_wait_kmcnt 0x0
	s_mov_b32 s18, s4
	s_and_b32 vcc_lo, exec_lo, s6
	s_cbranch_vccnz .LBB87_3
.LBB87_6:
	s_wait_kmcnt 0x0
                                        ; implicit-def: $sgpr19
.LBB87_7:
	s_wait_kmcnt 0x0
	s_mov_b32 s19, s2
.LBB87_8:
	s_cmp_eq_u32 s18, 0
	s_cselect_b32 s2, -1, 0
	s_wait_kmcnt 0x0
	s_cmp_eq_u32 s19, 1
	s_cselect_b32 s3, -1, 0
	s_delay_alu instid0(SALU_CYCLE_1) | instskip(NEXT) | instid1(SALU_CYCLE_1)
	s_and_b32 s2, s2, s3
	s_and_b32 vcc_lo, exec_lo, s2
	s_cbranch_vccnz .LBB87_35
; %bb.9:
	s_clause 0x1
	s_load_b32 s2, s[0:1], 0x94
	s_load_b96 s[20:22], s[0:1], 0x0
	s_bfe_u32 s3, ttmp6, 0x4000c
	s_and_b32 s4, ttmp6, 15
	s_add_co_i32 s3, s3, 1
	s_getreg_b32 s5, hwreg(HW_REG_IB_STS2, 6, 4)
	s_mul_i32 s3, ttmp9, s3
	s_delay_alu instid0(SALU_CYCLE_1) | instskip(SKIP_4) | instid1(SALU_CYCLE_1)
	s_add_co_i32 s4, s4, s3
	s_wait_kmcnt 0x0
	s_and_b32 s2, s2, 0xffff
	s_cmp_eq_u32 s5, 0
	s_cselect_b32 s3, ttmp9, s4
	v_mad_u32 v2, s3, s2, v0
	s_mov_b32 s2, exec_lo
	s_delay_alu instid0(VALU_DEP_1) | instskip(NEXT) | instid1(VALU_DEP_1)
	v_lshrrev_b32_e32 v1, 6, v2
	v_cmpx_gt_i32_e64 s21, v1
	s_cbranch_execz .LBB87_35
; %bb.10:
	s_cmp_lt_i32 s22, 1
	s_cbranch_scc1 .LBB87_35
; %bb.11:
	s_load_b256 s[4:11], s[0:1], 0x28
	v_dual_lshlrev_b32 v1, 3, v1 :: v_dual_lshrrev_b32 v4, 5, v2
	s_clause 0x1
	s_load_b128 s[12:15], s[0:1], 0x60
	s_load_b64 s[2:3], s[0:1], 0x48
	v_bfe_u32 v8, v2, 5, 1
	s_cmp_lg_u32 s19, 0
	v_lshrrev_b32_e32 v2, 5, v0
	s_cselect_b32 s21, -1, 0
	s_cmp_lg_u32 s16, 1
	v_and_b32_e32 v0, 31, v0
	s_cselect_b32 s16, -1, 0
	s_cmp_eq_u32 s20, 0
	v_mul_u32_u24_e32 v10, 0x60, v2
	s_wait_xcnt 0x0
	s_cselect_b32 s1, -1, 0
	v_dual_lshlrev_b32 v20, 7, v2 :: v_dual_lshlrev_b32 v2, 2, v4
	v_cndmask_b32_e64 v9, 0, 1, s1
	s_and_b32 s1, s1, exec_lo
	v_mul_u32_u24_e32 v16, 3, v0
	s_wait_kmcnt 0x0
	global_load_b128 v[12:15], v1, s[4:5]
	s_wait_xcnt 0x0
	v_mov_b32_e32 v1, 0
	v_or_b32_e32 v22, 0x100, v10
	s_mov_b32 s5, 0
	s_mov_b32 s4, s17
	v_lshl_or_b32 v21, v0, 2, v20
	v_dual_mov_b32 v5, v1 :: v_dual_mov_b32 v3, v1
	v_add_nc_u32_e32 v23, v22, v16
	s_delay_alu instid0(VALU_DEP_2) | instskip(SKIP_1) | instid1(VALU_DEP_4)
	v_mul_u64_e32 v[6:7], s[14:15], v[4:5]
	v_lshlrev_b32_e32 v4, v9, v8
	v_add_nc_u64_e32 v[2:3], s[12:13], v[2:3]
	s_delay_alu instid0(VALU_DEP_2) | instskip(SKIP_2) | instid1(VALU_DEP_4)
	v_add_nc_u64_e32 v[4:5], s[8:9], v[4:5]
	s_mov_b32 s8, s2
	s_mov_b32 s9, s3
	v_lshl_add_u64 v[6:7], v[6:7], 2, s[12:13]
	s_mov_b32 s12, s5
	s_wait_loadcnt 0x0
	v_sub_nc_u64_e64 v[8:9], v[12:13], s[4:5]
	v_sub_nc_u64_e64 v[10:11], v[14:15], s[4:5]
	v_cmp_lt_i64_e64 s0, v[12:13], v[14:15]
	s_cselect_b32 s4, 1, 2
	s_branch .LBB87_13
.LBB87_12:                              ;   in Loop: Header=BB87_13 Depth=1
	s_wait_xcnt 0x0
	s_or_b32 exec_lo, exec_lo, s1
	s_add_co_i32 s12, s12, 32
	s_delay_alu instid0(SALU_CYCLE_1)
	s_cmp_lt_i32 s12, s22
	s_cbranch_scc0 .LBB87_35
.LBB87_13:                              ; =>This Loop Header: Depth=1
                                        ;     Child Loop BB87_16 Depth 2
                                        ;       Child Loop BB87_20 Depth 3
	v_dual_mov_b32 v24, 0 :: v_dual_bitop2_b32 v12, s12, v0 bitop3:0x54
	s_delay_alu instid0(VALU_DEP_1)
	v_ashrrev_i32_e32 v13, 31, v12
	s_and_saveexec_b32 s13, s0
	s_cbranch_execz .LBB87_23
; %bb.14:                               ;   in Loop: Header=BB87_13 Depth=1
	s_delay_alu instid0(VALU_DEP_1)
	v_add_nc_u64_e32 v[14:15], s[10:11], v[12:13]
	v_mov_b64_e32 v[16:17], v[8:9]
	v_mov_b32_e32 v24, 0
	s_mov_b32 s20, 0
	v_cmp_gt_i32_e32 vcc_lo, s22, v12
	s_branch .LBB87_16
.LBB87_15:                              ;   in Loop: Header=BB87_16 Depth=2
	s_wait_xcnt 0x0
	s_or_b32 exec_lo, exec_lo, s1
	v_add_nc_u64_e32 v[16:17], 32, v[16:17]
	s_delay_alu instid0(VALU_DEP_1) | instskip(SKIP_1) | instid1(SALU_CYCLE_1)
	v_cmp_ge_i64_e64 s1, v[16:17], v[10:11]
	s_or_b32 s20, s1, s20
	s_and_not1_b32 exec_lo, exec_lo, s20
	s_cbranch_execz .LBB87_22
.LBB87_16:                              ;   Parent Loop BB87_13 Depth=1
                                        ; =>  This Loop Header: Depth=2
                                        ;       Child Loop BB87_20 Depth 3
	s_delay_alu instid0(VALU_DEP_3) | instskip(SKIP_3) | instid1(VALU_DEP_3)
	v_add_nc_u64_e32 v[18:19], v[16:17], v[0:1]
	v_dual_mov_b32 v27, 0 :: v_dual_mov_b32 v25, 0
	v_mov_b32_e32 v26, 0
	s_mov_b32 s23, exec_lo
	v_cmpx_lt_i64_e64 v[18:19], v[10:11]
	s_cbranch_execz .LBB87_18
; %bb.17:                               ;   in Loop: Header=BB87_16 Depth=2
	v_lshlrev_b64_e32 v[18:19], 2, v[18:19]
	s_delay_alu instid0(VALU_DEP_1)
	v_add_nc_u64_e32 v[26:27], s[6:7], v[18:19]
	v_add_nc_u64_e32 v[18:19], v[4:5], v[18:19]
	global_load_b32 v27, v[26:27], off
	v_add_nc_u64_e32 v[28:29], s[4:5], v[18:19]
	s_clause 0x1
	global_load_u8 v25, v[18:19], off
	global_load_u8 v26, v[28:29], off
	s_wait_loadcnt 0x2
	s_wait_xcnt 0x1
	v_subrev_nc_u32_e32 v18, s17, v27
	s_delay_alu instid0(VALU_DEP_1)
	v_lshlrev_b32_e32 v27, 1, v18
.LBB87_18:                              ;   in Loop: Header=BB87_16 Depth=2
	s_wait_xcnt 0x0
	s_or_b32 exec_lo, exec_lo, s23
	ds_store_b32 v21, v27
	s_wait_loadcnt 0x1
	ds_store_b8 v23, v25
	s_wait_loadcnt 0x0
	ds_store_b8 v23, v26 offset:1
	s_wait_dscnt 0x0
	s_barrier_signal -1
	s_barrier_wait -1
	s_and_saveexec_b32 s1, vcc_lo
	s_cbranch_execz .LBB87_15
; %bb.19:                               ;   in Loop: Header=BB87_16 Depth=2
	v_mov_b32_e32 v18, 0
	s_mov_b32 s23, 1
	s_mov_b32 s24, 0
	;; [unrolled: 1-line block ×3, first 2 shown]
.LBB87_20:                              ;   Parent Loop BB87_13 Depth=1
                                        ;     Parent Loop BB87_16 Depth=2
                                        ; =>    This Inner Loop Header: Depth=3
	v_add_nc_u32_e32 v19, s24, v20
	v_mad_u32 v25, s23, 3, v22
	s_add_co_i32 s24, s24, 8
	s_add_co_i32 s23, s23, 2
	ds_load_b64 v[26:27], v19
	v_mad_u32 v19, s25, 3, v22
	s_add_co_i32 s25, s25, 2
	s_cmp_lg_u32 s24, 0x80
	ds_load_u16 v19, v19
	ds_load_i8 v36, v25
	ds_load_i8 v25, v25 offset:1
	s_wait_dscnt 0x3
	s_wait_xcnt 0x3
	v_mad_nc_u64_u32 v[28:29], s2, v26, v[14:15]
	v_dual_add_nc_u32 v37, 1, v27 :: v_dual_add_nc_u32 v38, 1, v26
	s_wait_xcnt 0x2
	v_mad_nc_u64_u32 v[30:31], s8, v27, v[14:15]
	s_wait_xcnt 0x1
	s_delay_alu instid0(VALU_DEP_2)
	v_mad_nc_u64_u32 v[32:33], s8, v37, v[14:15]
	s_wait_dscnt 0x2
	v_perm_b32 v19, v19, v19, 0xc0c0100
	v_mad_u32 v29, s3, v26, v29
	v_ashrrev_i32_e32 v26, 31, v26
	s_wait_xcnt 0x0
	v_mad_nc_u64_u32 v[34:35], s2, v38, v[14:15]
	v_mad_u32 v31, s9, v27, v31
	v_ashrrev_i32_e32 v27, 31, v27
	s_wait_dscnt 0x0
	v_perm_b32 v25, v25, v36, 0xc0c0400
	v_mad_u32 v33, s9, v37, v33
	v_ashrrev_i32_e32 v37, 31, v37
	v_mad_u32 v29, s2, v26, v29
	v_mad_u32 v35, s3, v38, v35
	v_ashrrev_i32_e32 v38, 31, v38
	v_mad_u32 v31, s8, v27, v31
	v_mad_u32 v33, s8, v37, v33
	s_delay_alu instid0(VALU_DEP_3)
	v_mad_u32 v35, s2, v38, v35
	s_clause 0x3
	global_load_i8 v26, v[28:29], off
	global_load_i8 v27, v[30:31], off
	;; [unrolled: 1-line block ×4, first 2 shown]
	s_wait_loadcnt 0x1
	v_perm_b32 v27, v37, v27, 0xc0c0400
	s_wait_loadcnt 0x0
	v_perm_b32 v26, v38, v26, 0xc0c0400
	s_delay_alu instid0(VALU_DEP_2) | instskip(NEXT) | instid1(VALU_DEP_2)
	v_dot4_i32_iu8 v18, v25, v27, v18 neg_lo:[1,1,0]
	v_dot4_i32_iu8 v24, v19, v26, v24 neg_lo:[1,1,0]
	s_cbranch_scc1 .LBB87_20
; %bb.21:                               ;   in Loop: Header=BB87_16 Depth=2
	s_delay_alu instid0(VALU_DEP_1)
	v_add_nc_u32_e32 v24, v24, v18
	s_branch .LBB87_15
.LBB87_22:                              ;   in Loop: Header=BB87_13 Depth=1
	s_or_b32 exec_lo, exec_lo, s20
.LBB87_23:                              ;   in Loop: Header=BB87_13 Depth=1
	s_delay_alu instid0(SALU_CYCLE_1) | instskip(NEXT) | instid1(SALU_CYCLE_1)
	s_or_b32 exec_lo, exec_lo, s13
	s_mov_b32 s1, exec_lo
	v_cmpx_gt_i32_e64 s22, v12
	s_cbranch_execz .LBB87_12
; %bb.24:                               ;   in Loop: Header=BB87_13 Depth=1
	s_and_b32 vcc_lo, exec_lo, s21
	s_cbranch_vccz .LBB87_30
; %bb.25:                               ;   in Loop: Header=BB87_13 Depth=1
	s_and_b32 vcc_lo, exec_lo, s16
	s_mov_b32 s13, -1
	s_cbranch_vccz .LBB87_27
; %bb.26:                               ;   in Loop: Header=BB87_13 Depth=1
	v_lshl_add_u64 v[14:15], v[12:13], 2, v[6:7]
	v_mul_lo_u32 v17, v24, s18
	s_mov_b32 s13, 0
	global_load_b32 v16, v[14:15], off
	s_wait_loadcnt 0x0
	v_mad_u32 v16, v16, s19, v17
	global_store_b32 v[14:15], v16, off
.LBB87_27:                              ;   in Loop: Header=BB87_13 Depth=1
	s_and_not1_b32 vcc_lo, exec_lo, s13
	s_cbranch_vccnz .LBB87_29
; %bb.28:                               ;   in Loop: Header=BB87_13 Depth=1
	s_wait_xcnt 0x0
	v_mul_u64_e32 v[14:15], s[14:15], v[12:13]
	v_mul_lo_u32 v17, v24, s18
	s_delay_alu instid0(VALU_DEP_2)
	v_lshl_add_u64 v[14:15], v[14:15], 2, v[2:3]
	global_load_b32 v16, v[14:15], off
	s_wait_loadcnt 0x0
	v_mad_u32 v16, v16, s19, v17
	global_store_b32 v[14:15], v16, off
.LBB87_29:                              ;   in Loop: Header=BB87_13 Depth=1
	s_cbranch_execnz .LBB87_12
	s_branch .LBB87_31
.LBB87_30:                              ;   in Loop: Header=BB87_13 Depth=1
.LBB87_31:                              ;   in Loop: Header=BB87_13 Depth=1
	s_wait_xcnt 0x0
	v_mul_lo_u32 v14, v24, s18
	s_and_b32 vcc_lo, exec_lo, s16
	s_mov_b32 s13, -1
	s_cbranch_vccz .LBB87_33
; %bb.32:                               ;   in Loop: Header=BB87_13 Depth=1
	v_lshl_add_u64 v[16:17], v[12:13], 2, v[6:7]
	s_mov_b32 s13, 0
	global_store_b32 v[16:17], v14, off
.LBB87_33:                              ;   in Loop: Header=BB87_13 Depth=1
	s_and_not1_b32 vcc_lo, exec_lo, s13
	s_cbranch_vccnz .LBB87_12
; %bb.34:                               ;   in Loop: Header=BB87_13 Depth=1
	v_mul_u64_e32 v[12:13], s[14:15], v[12:13]
	s_delay_alu instid0(VALU_DEP_1)
	v_lshl_add_u64 v[12:13], v[12:13], 2, v[2:3]
	global_store_b32 v[12:13], v14, off
	s_branch .LBB87_12
.LBB87_35:
	s_endpgm
	.section	.rodata,"a",@progbits
	.p2align	6, 0x0
	.amdhsa_kernel _ZN9rocsparseL29bsrmmnt_small_blockdim_kernelILj64ELj32ELj2EliaaiiEEv20rocsparse_direction_T3_S2_llNS_24const_host_device_scalarIT7_EEPKT2_PKS2_PKT4_PKT5_llS5_PT6_ll16rocsparse_order_21rocsparse_index_base_b
		.amdhsa_group_segment_fixed_size 448
		.amdhsa_private_segment_fixed_size 0
		.amdhsa_kernarg_size 392
		.amdhsa_user_sgpr_count 2
		.amdhsa_user_sgpr_dispatch_ptr 0
		.amdhsa_user_sgpr_queue_ptr 0
		.amdhsa_user_sgpr_kernarg_segment_ptr 1
		.amdhsa_user_sgpr_dispatch_id 0
		.amdhsa_user_sgpr_kernarg_preload_length 0
		.amdhsa_user_sgpr_kernarg_preload_offset 0
		.amdhsa_user_sgpr_private_segment_size 0
		.amdhsa_wavefront_size32 1
		.amdhsa_uses_dynamic_stack 0
		.amdhsa_enable_private_segment 0
		.amdhsa_system_sgpr_workgroup_id_x 1
		.amdhsa_system_sgpr_workgroup_id_y 0
		.amdhsa_system_sgpr_workgroup_id_z 0
		.amdhsa_system_sgpr_workgroup_info 0
		.amdhsa_system_vgpr_workitem_id 0
		.amdhsa_next_free_vgpr 39
		.amdhsa_next_free_sgpr 26
		.amdhsa_named_barrier_count 0
		.amdhsa_reserve_vcc 1
		.amdhsa_float_round_mode_32 0
		.amdhsa_float_round_mode_16_64 0
		.amdhsa_float_denorm_mode_32 3
		.amdhsa_float_denorm_mode_16_64 3
		.amdhsa_fp16_overflow 0
		.amdhsa_memory_ordered 1
		.amdhsa_forward_progress 1
		.amdhsa_inst_pref_size 12
		.amdhsa_round_robin_scheduling 0
		.amdhsa_exception_fp_ieee_invalid_op 0
		.amdhsa_exception_fp_denorm_src 0
		.amdhsa_exception_fp_ieee_div_zero 0
		.amdhsa_exception_fp_ieee_overflow 0
		.amdhsa_exception_fp_ieee_underflow 0
		.amdhsa_exception_fp_ieee_inexact 0
		.amdhsa_exception_int_div_zero 0
	.end_amdhsa_kernel
	.section	.text._ZN9rocsparseL29bsrmmnt_small_blockdim_kernelILj64ELj32ELj2EliaaiiEEv20rocsparse_direction_T3_S2_llNS_24const_host_device_scalarIT7_EEPKT2_PKS2_PKT4_PKT5_llS5_PT6_ll16rocsparse_order_21rocsparse_index_base_b,"axG",@progbits,_ZN9rocsparseL29bsrmmnt_small_blockdim_kernelILj64ELj32ELj2EliaaiiEEv20rocsparse_direction_T3_S2_llNS_24const_host_device_scalarIT7_EEPKT2_PKS2_PKT4_PKT5_llS5_PT6_ll16rocsparse_order_21rocsparse_index_base_b,comdat
.Lfunc_end87:
	.size	_ZN9rocsparseL29bsrmmnt_small_blockdim_kernelILj64ELj32ELj2EliaaiiEEv20rocsparse_direction_T3_S2_llNS_24const_host_device_scalarIT7_EEPKT2_PKS2_PKT4_PKT5_llS5_PT6_ll16rocsparse_order_21rocsparse_index_base_b, .Lfunc_end87-_ZN9rocsparseL29bsrmmnt_small_blockdim_kernelILj64ELj32ELj2EliaaiiEEv20rocsparse_direction_T3_S2_llNS_24const_host_device_scalarIT7_EEPKT2_PKS2_PKT4_PKT5_llS5_PT6_ll16rocsparse_order_21rocsparse_index_base_b
                                        ; -- End function
	.set _ZN9rocsparseL29bsrmmnt_small_blockdim_kernelILj64ELj32ELj2EliaaiiEEv20rocsparse_direction_T3_S2_llNS_24const_host_device_scalarIT7_EEPKT2_PKS2_PKT4_PKT5_llS5_PT6_ll16rocsparse_order_21rocsparse_index_base_b.num_vgpr, 39
	.set _ZN9rocsparseL29bsrmmnt_small_blockdim_kernelILj64ELj32ELj2EliaaiiEEv20rocsparse_direction_T3_S2_llNS_24const_host_device_scalarIT7_EEPKT2_PKS2_PKT4_PKT5_llS5_PT6_ll16rocsparse_order_21rocsparse_index_base_b.num_agpr, 0
	.set _ZN9rocsparseL29bsrmmnt_small_blockdim_kernelILj64ELj32ELj2EliaaiiEEv20rocsparse_direction_T3_S2_llNS_24const_host_device_scalarIT7_EEPKT2_PKS2_PKT4_PKT5_llS5_PT6_ll16rocsparse_order_21rocsparse_index_base_b.numbered_sgpr, 26
	.set _ZN9rocsparseL29bsrmmnt_small_blockdim_kernelILj64ELj32ELj2EliaaiiEEv20rocsparse_direction_T3_S2_llNS_24const_host_device_scalarIT7_EEPKT2_PKS2_PKT4_PKT5_llS5_PT6_ll16rocsparse_order_21rocsparse_index_base_b.num_named_barrier, 0
	.set _ZN9rocsparseL29bsrmmnt_small_blockdim_kernelILj64ELj32ELj2EliaaiiEEv20rocsparse_direction_T3_S2_llNS_24const_host_device_scalarIT7_EEPKT2_PKS2_PKT4_PKT5_llS5_PT6_ll16rocsparse_order_21rocsparse_index_base_b.private_seg_size, 0
	.set _ZN9rocsparseL29bsrmmnt_small_blockdim_kernelILj64ELj32ELj2EliaaiiEEv20rocsparse_direction_T3_S2_llNS_24const_host_device_scalarIT7_EEPKT2_PKS2_PKT4_PKT5_llS5_PT6_ll16rocsparse_order_21rocsparse_index_base_b.uses_vcc, 1
	.set _ZN9rocsparseL29bsrmmnt_small_blockdim_kernelILj64ELj32ELj2EliaaiiEEv20rocsparse_direction_T3_S2_llNS_24const_host_device_scalarIT7_EEPKT2_PKS2_PKT4_PKT5_llS5_PT6_ll16rocsparse_order_21rocsparse_index_base_b.uses_flat_scratch, 0
	.set _ZN9rocsparseL29bsrmmnt_small_blockdim_kernelILj64ELj32ELj2EliaaiiEEv20rocsparse_direction_T3_S2_llNS_24const_host_device_scalarIT7_EEPKT2_PKS2_PKT4_PKT5_llS5_PT6_ll16rocsparse_order_21rocsparse_index_base_b.has_dyn_sized_stack, 0
	.set _ZN9rocsparseL29bsrmmnt_small_blockdim_kernelILj64ELj32ELj2EliaaiiEEv20rocsparse_direction_T3_S2_llNS_24const_host_device_scalarIT7_EEPKT2_PKS2_PKT4_PKT5_llS5_PT6_ll16rocsparse_order_21rocsparse_index_base_b.has_recursion, 0
	.set _ZN9rocsparseL29bsrmmnt_small_blockdim_kernelILj64ELj32ELj2EliaaiiEEv20rocsparse_direction_T3_S2_llNS_24const_host_device_scalarIT7_EEPKT2_PKS2_PKT4_PKT5_llS5_PT6_ll16rocsparse_order_21rocsparse_index_base_b.has_indirect_call, 0
	.section	.AMDGPU.csdata,"",@progbits
; Kernel info:
; codeLenInByte = 1524
; TotalNumSgprs: 28
; NumVgprs: 39
; ScratchSize: 0
; MemoryBound: 0
; FloatMode: 240
; IeeeMode: 1
; LDSByteSize: 448 bytes/workgroup (compile time only)
; SGPRBlocks: 0
; VGPRBlocks: 2
; NumSGPRsForWavesPerEU: 28
; NumVGPRsForWavesPerEU: 39
; NamedBarCnt: 0
; Occupancy: 16
; WaveLimiterHint : 0
; COMPUTE_PGM_RSRC2:SCRATCH_EN: 0
; COMPUTE_PGM_RSRC2:USER_SGPR: 2
; COMPUTE_PGM_RSRC2:TRAP_HANDLER: 0
; COMPUTE_PGM_RSRC2:TGID_X_EN: 1
; COMPUTE_PGM_RSRC2:TGID_Y_EN: 0
; COMPUTE_PGM_RSRC2:TGID_Z_EN: 0
; COMPUTE_PGM_RSRC2:TIDIG_COMP_CNT: 0
	.section	.text._ZN9rocsparseL29bsrmmnt_small_blockdim_kernelILj64ELj64ELj2EliaaiiEEv20rocsparse_direction_T3_S2_llNS_24const_host_device_scalarIT7_EEPKT2_PKS2_PKT4_PKT5_llS5_PT6_ll16rocsparse_order_21rocsparse_index_base_b,"axG",@progbits,_ZN9rocsparseL29bsrmmnt_small_blockdim_kernelILj64ELj64ELj2EliaaiiEEv20rocsparse_direction_T3_S2_llNS_24const_host_device_scalarIT7_EEPKT2_PKS2_PKT4_PKT5_llS5_PT6_ll16rocsparse_order_21rocsparse_index_base_b,comdat
	.globl	_ZN9rocsparseL29bsrmmnt_small_blockdim_kernelILj64ELj64ELj2EliaaiiEEv20rocsparse_direction_T3_S2_llNS_24const_host_device_scalarIT7_EEPKT2_PKS2_PKT4_PKT5_llS5_PT6_ll16rocsparse_order_21rocsparse_index_base_b ; -- Begin function _ZN9rocsparseL29bsrmmnt_small_blockdim_kernelILj64ELj64ELj2EliaaiiEEv20rocsparse_direction_T3_S2_llNS_24const_host_device_scalarIT7_EEPKT2_PKS2_PKT4_PKT5_llS5_PT6_ll16rocsparse_order_21rocsparse_index_base_b
	.p2align	8
	.type	_ZN9rocsparseL29bsrmmnt_small_blockdim_kernelILj64ELj64ELj2EliaaiiEEv20rocsparse_direction_T3_S2_llNS_24const_host_device_scalarIT7_EEPKT2_PKS2_PKT4_PKT5_llS5_PT6_ll16rocsparse_order_21rocsparse_index_base_b,@function
_ZN9rocsparseL29bsrmmnt_small_blockdim_kernelILj64ELj64ELj2EliaaiiEEv20rocsparse_direction_T3_S2_llNS_24const_host_device_scalarIT7_EEPKT2_PKS2_PKT4_PKT5_llS5_PT6_ll16rocsparse_order_21rocsparse_index_base_b: ; @_ZN9rocsparseL29bsrmmnt_small_blockdim_kernelILj64ELj64ELj2EliaaiiEEv20rocsparse_direction_T3_S2_llNS_24const_host_device_scalarIT7_EEPKT2_PKS2_PKT4_PKT5_llS5_PT6_ll16rocsparse_order_21rocsparse_index_base_b
; %bb.0:
	s_clause 0x1
	s_load_b96 s[16:18], s[0:1], 0x78
	s_load_b64 s[4:5], s[0:1], 0x20
	s_mov_b32 s7, -1
	s_wait_kmcnt 0x0
	s_bitcmp1_b32 s18, 0
                                        ; implicit-def: $sgpr18
	s_cselect_b32 s2, -1, 0
	s_delay_alu instid0(SALU_CYCLE_1) | instskip(NEXT) | instid1(SALU_CYCLE_1)
	s_xor_b32 s6, s2, -1
	s_and_b32 vcc_lo, exec_lo, s6
	s_cbranch_vccnz .LBB88_4
; %bb.1:
	s_load_b64 s[2:3], s[0:1], 0x58
	s_and_not1_b32 vcc_lo, exec_lo, s7
	s_cbranch_vccz .LBB88_5
.LBB88_2:
	s_and_b32 vcc_lo, exec_lo, s6
	s_cbranch_vccz .LBB88_6
.LBB88_3:
	s_wait_kmcnt 0x0
	s_load_b32 s19, s[2:3], 0x0
	s_wait_xcnt 0x0
	s_cbranch_execz .LBB88_7
	s_branch .LBB88_8
.LBB88_4:
	s_load_b32 s18, s[4:5], 0x0
	s_load_b64 s[2:3], s[0:1], 0x58
	s_cbranch_execnz .LBB88_2
.LBB88_5:
	s_wait_kmcnt 0x0
	s_mov_b32 s18, s4
	s_and_b32 vcc_lo, exec_lo, s6
	s_cbranch_vccnz .LBB88_3
.LBB88_6:
	s_wait_kmcnt 0x0
                                        ; implicit-def: $sgpr19
.LBB88_7:
	s_wait_kmcnt 0x0
	s_mov_b32 s19, s2
.LBB88_8:
	s_cmp_eq_u32 s18, 0
	s_cselect_b32 s2, -1, 0
	s_wait_kmcnt 0x0
	s_cmp_eq_u32 s19, 1
	s_cselect_b32 s3, -1, 0
	s_delay_alu instid0(SALU_CYCLE_1) | instskip(NEXT) | instid1(SALU_CYCLE_1)
	s_and_b32 s2, s2, s3
	s_and_b32 vcc_lo, exec_lo, s2
	s_cbranch_vccnz .LBB88_35
; %bb.9:
	s_clause 0x1
	s_load_b32 s2, s[0:1], 0x94
	s_load_b96 s[20:22], s[0:1], 0x0
	s_bfe_u32 s3, ttmp6, 0x4000c
	s_and_b32 s4, ttmp6, 15
	s_add_co_i32 s3, s3, 1
	s_getreg_b32 s5, hwreg(HW_REG_IB_STS2, 6, 4)
	s_mul_i32 s3, ttmp9, s3
	s_delay_alu instid0(SALU_CYCLE_1) | instskip(SKIP_4) | instid1(SALU_CYCLE_1)
	s_add_co_i32 s4, s4, s3
	s_wait_kmcnt 0x0
	s_and_b32 s2, s2, 0xffff
	s_cmp_eq_u32 s5, 0
	s_cselect_b32 s3, ttmp9, s4
	v_mad_u32 v2, s3, s2, v0
	s_mov_b32 s2, exec_lo
	s_delay_alu instid0(VALU_DEP_1) | instskip(NEXT) | instid1(VALU_DEP_1)
	v_lshrrev_b32_e32 v1, 7, v2
	v_cmpx_gt_i32_e64 s21, v1
	s_cbranch_execz .LBB88_35
; %bb.10:
	s_cmp_lt_i32 s22, 1
	s_cbranch_scc1 .LBB88_35
; %bb.11:
	s_load_b256 s[4:11], s[0:1], 0x28
	v_dual_lshlrev_b32 v1, 3, v1 :: v_dual_lshrrev_b32 v4, 6, v2
	s_clause 0x1
	s_load_b128 s[12:15], s[0:1], 0x60
	s_load_b64 s[2:3], s[0:1], 0x48
	v_bfe_u32 v8, v2, 6, 1
	s_cmp_lg_u32 s19, 0
	v_mul_u32_u24_e32 v16, 3, v0
	s_cselect_b32 s21, -1, 0
	s_cmp_lg_u32 s16, 1
	v_lshlrev_b32_e32 v20, 2, v0
	s_cselect_b32 s16, -1, 0
	s_cmp_eq_u32 s20, 0
	v_add_nc_u32_e32 v21, 0x100, v16
	s_wait_xcnt 0x0
	s_cselect_b32 s1, -1, 0
	v_lshlrev_b32_e32 v2, 2, v4
	v_cndmask_b32_e64 v9, 0, 1, s1
	s_and_b32 s1, s1, exec_lo
	s_wait_kmcnt 0x0
	global_load_b128 v[12:15], v1, s[4:5]
	s_wait_xcnt 0x0
	v_mov_b32_e32 v1, 0
	s_mov_b32 s5, 0
	s_mov_b32 s4, s17
	s_delay_alu instid0(VALU_DEP_1) | instskip(NEXT) | instid1(VALU_DEP_1)
	v_dual_mov_b32 v5, v1 :: v_dual_mov_b32 v3, v1
	v_mul_u64_e32 v[6:7], s[14:15], v[4:5]
	v_lshlrev_b32_e32 v4, v9, v8
	s_delay_alu instid0(VALU_DEP_3) | instskip(NEXT) | instid1(VALU_DEP_2)
	v_add_nc_u64_e32 v[2:3], s[12:13], v[2:3]
	v_add_nc_u64_e32 v[4:5], s[8:9], v[4:5]
	s_mov_b32 s8, s2
	s_mov_b32 s9, s3
	s_delay_alu instid0(VALU_DEP_4)
	v_lshl_add_u64 v[6:7], v[6:7], 2, s[12:13]
	s_mov_b32 s12, s5
	s_wait_loadcnt 0x0
	v_sub_nc_u64_e64 v[8:9], v[12:13], s[4:5]
	v_sub_nc_u64_e64 v[10:11], v[14:15], s[4:5]
	v_cmp_lt_i64_e64 s0, v[12:13], v[14:15]
	s_cselect_b32 s4, 1, 2
	s_branch .LBB88_13
.LBB88_12:                              ;   in Loop: Header=BB88_13 Depth=1
	s_wait_xcnt 0x0
	s_or_b32 exec_lo, exec_lo, s1
	s_add_co_i32 s12, s12, 64
	s_delay_alu instid0(SALU_CYCLE_1)
	s_cmp_lt_i32 s12, s22
	s_cbranch_scc0 .LBB88_35
.LBB88_13:                              ; =>This Loop Header: Depth=1
                                        ;     Child Loop BB88_16 Depth 2
                                        ;       Child Loop BB88_20 Depth 3
	v_dual_mov_b32 v22, 0 :: v_dual_bitop2_b32 v12, s12, v0 bitop3:0x54
	s_delay_alu instid0(VALU_DEP_1)
	v_ashrrev_i32_e32 v13, 31, v12
	s_and_saveexec_b32 s13, s0
	s_cbranch_execz .LBB88_23
; %bb.14:                               ;   in Loop: Header=BB88_13 Depth=1
	s_delay_alu instid0(VALU_DEP_1)
	v_add_nc_u64_e32 v[14:15], s[10:11], v[12:13]
	v_mov_b64_e32 v[16:17], v[8:9]
	v_mov_b32_e32 v22, 0
	s_mov_b32 s20, 0
	v_cmp_gt_i32_e32 vcc_lo, s22, v12
	s_branch .LBB88_16
.LBB88_15:                              ;   in Loop: Header=BB88_16 Depth=2
	s_wait_xcnt 0x0
	s_or_b32 exec_lo, exec_lo, s1
	v_add_nc_u64_e32 v[16:17], 64, v[16:17]
	s_delay_alu instid0(VALU_DEP_1) | instskip(SKIP_1) | instid1(SALU_CYCLE_1)
	v_cmp_ge_i64_e64 s1, v[16:17], v[10:11]
	s_or_b32 s20, s1, s20
	s_and_not1_b32 exec_lo, exec_lo, s20
	s_cbranch_execz .LBB88_22
.LBB88_16:                              ;   Parent Loop BB88_13 Depth=1
                                        ; =>  This Loop Header: Depth=2
                                        ;       Child Loop BB88_20 Depth 3
	s_delay_alu instid0(VALU_DEP_3) | instskip(SKIP_3) | instid1(VALU_DEP_3)
	v_add_nc_u64_e32 v[18:19], v[16:17], v[0:1]
	v_dual_mov_b32 v25, 0 :: v_dual_mov_b32 v23, 0
	v_mov_b32_e32 v24, 0
	s_mov_b32 s23, exec_lo
	v_cmpx_lt_i64_e64 v[18:19], v[10:11]
	s_cbranch_execz .LBB88_18
; %bb.17:                               ;   in Loop: Header=BB88_16 Depth=2
	v_lshlrev_b64_e32 v[18:19], 2, v[18:19]
	s_delay_alu instid0(VALU_DEP_1)
	v_add_nc_u64_e32 v[24:25], s[6:7], v[18:19]
	v_add_nc_u64_e32 v[18:19], v[4:5], v[18:19]
	global_load_b32 v25, v[24:25], off
	v_add_nc_u64_e32 v[26:27], s[4:5], v[18:19]
	s_clause 0x1
	global_load_u8 v23, v[18:19], off
	global_load_u8 v24, v[26:27], off
	s_wait_loadcnt 0x2
	s_wait_xcnt 0x1
	v_subrev_nc_u32_e32 v18, s17, v25
	s_delay_alu instid0(VALU_DEP_1)
	v_lshlrev_b32_e32 v25, 1, v18
.LBB88_18:                              ;   in Loop: Header=BB88_16 Depth=2
	s_wait_xcnt 0x0
	s_or_b32 exec_lo, exec_lo, s23
	ds_store_b32 v20, v25
	s_wait_loadcnt 0x1
	ds_store_b8 v21, v23
	s_wait_loadcnt 0x0
	ds_store_b8 v21, v24 offset:1
	s_wait_dscnt 0x0
	s_barrier_signal -1
	s_barrier_wait -1
	s_and_saveexec_b32 s1, vcc_lo
	s_cbranch_execz .LBB88_15
; %bb.19:                               ;   in Loop: Header=BB88_16 Depth=2
	v_mov_b32_e32 v18, 0
	s_mov_b32 s23, 1
	s_mov_b32 s24, 0
	;; [unrolled: 1-line block ×3, first 2 shown]
.LBB88_20:                              ;   Parent Loop BB88_13 Depth=1
                                        ;     Parent Loop BB88_16 Depth=2
                                        ; =>    This Inner Loop Header: Depth=3
	v_mov_b32_e32 v19, s24
	v_mad_u32 v23, s25, 3, 0x100
	s_add_co_i32 s24, s24, 8
	s_add_co_i32 s25, s25, 2
	ds_load_b64 v[24:25], v19
	v_mad_u32 v19, s23, 3, 0x100
	s_add_co_i32 s23, s23, 2
	ds_load_u16 v23, v23
	ds_load_i8 v32, v19
	ds_load_i8 v19, v19 offset:1
	s_wait_dscnt 0x3
	v_readfirstlane_b32 s26, v25
	v_readfirstlane_b32 s27, v24
	s_ashr_i32 s28, s26, 31
	v_mad_nc_u64_u32 v[24:25], s2, s27, v[14:15]
	s_wait_xcnt 0x2
	v_mad_nc_u64_u32 v[26:27], s8, s26, v[14:15]
	s_mul_i32 s31, s9, s26
	s_add_co_i32 s26, s26, 1
	s_ashr_i32 s29, s27, 31
	s_mul_i32 s30, s3, s27
	s_add_co_i32 s27, s27, 1
	s_wait_xcnt 0x1
	v_mad_nc_u64_u32 v[28:29], s8, s26, v[14:15]
	s_wait_xcnt 0x0
	v_mad_nc_u64_u32 v[30:31], s2, s27, v[14:15]
	s_mul_i32 s29, s2, s29
	s_ashr_i32 s33, s26, 31
	s_mul_i32 s28, s8, s28
	s_ashr_i32 s34, s27, 31
	s_mul_i32 s26, s9, s26
	s_mul_i32 s33, s8, s33
	v_add3_u32 v25, s29, s30, v25
	s_mul_i32 s27, s3, s27
	s_mul_i32 s34, s2, s34
	v_add3_u32 v27, s28, s31, v27
	v_add3_u32 v29, s33, s26, v29
	;; [unrolled: 1-line block ×3, first 2 shown]
	s_clause 0x3
	global_load_i8 v33, v[24:25], off
	global_load_i8 v34, v[26:27], off
	;; [unrolled: 1-line block ×4, first 2 shown]
	s_wait_dscnt 0x0
	v_perm_b32 v19, v19, v32, 0xc0c0400
	v_perm_b32 v23, v23, v23, 0xc0c0100
	s_cmp_lg_u32 s24, 0x100
	s_wait_loadcnt 0x1
	s_wait_xcnt 0x3
	v_perm_b32 v24, v35, v34, 0xc0c0400
	s_wait_loadcnt 0x0
	v_perm_b32 v25, v36, v33, 0xc0c0400
	s_delay_alu instid0(VALU_DEP_2) | instskip(NEXT) | instid1(VALU_DEP_2)
	v_dot4_i32_iu8 v18, v19, v24, v18 neg_lo:[1,1,0]
	v_dot4_i32_iu8 v22, v23, v25, v22 neg_lo:[1,1,0]
	s_cbranch_scc1 .LBB88_20
; %bb.21:                               ;   in Loop: Header=BB88_16 Depth=2
	s_delay_alu instid0(VALU_DEP_1)
	v_add_nc_u32_e32 v22, v22, v18
	s_branch .LBB88_15
.LBB88_22:                              ;   in Loop: Header=BB88_13 Depth=1
	s_or_b32 exec_lo, exec_lo, s20
.LBB88_23:                              ;   in Loop: Header=BB88_13 Depth=1
	s_delay_alu instid0(SALU_CYCLE_1) | instskip(NEXT) | instid1(SALU_CYCLE_1)
	s_or_b32 exec_lo, exec_lo, s13
	s_mov_b32 s1, exec_lo
	v_cmpx_gt_i32_e64 s22, v12
	s_cbranch_execz .LBB88_12
; %bb.24:                               ;   in Loop: Header=BB88_13 Depth=1
	s_and_b32 vcc_lo, exec_lo, s21
	s_cbranch_vccz .LBB88_30
; %bb.25:                               ;   in Loop: Header=BB88_13 Depth=1
	s_and_b32 vcc_lo, exec_lo, s16
	s_mov_b32 s13, -1
	s_cbranch_vccz .LBB88_27
; %bb.26:                               ;   in Loop: Header=BB88_13 Depth=1
	v_lshl_add_u64 v[14:15], v[12:13], 2, v[6:7]
	v_mul_lo_u32 v17, v22, s18
	s_mov_b32 s13, 0
	global_load_b32 v16, v[14:15], off
	s_wait_loadcnt 0x0
	v_mad_u32 v16, v16, s19, v17
	global_store_b32 v[14:15], v16, off
.LBB88_27:                              ;   in Loop: Header=BB88_13 Depth=1
	s_and_not1_b32 vcc_lo, exec_lo, s13
	s_cbranch_vccnz .LBB88_29
; %bb.28:                               ;   in Loop: Header=BB88_13 Depth=1
	s_wait_xcnt 0x0
	v_mul_u64_e32 v[14:15], s[14:15], v[12:13]
	v_mul_lo_u32 v17, v22, s18
	s_delay_alu instid0(VALU_DEP_2)
	v_lshl_add_u64 v[14:15], v[14:15], 2, v[2:3]
	global_load_b32 v16, v[14:15], off
	s_wait_loadcnt 0x0
	v_mad_u32 v16, v16, s19, v17
	global_store_b32 v[14:15], v16, off
.LBB88_29:                              ;   in Loop: Header=BB88_13 Depth=1
	s_cbranch_execnz .LBB88_12
	s_branch .LBB88_31
.LBB88_30:                              ;   in Loop: Header=BB88_13 Depth=1
.LBB88_31:                              ;   in Loop: Header=BB88_13 Depth=1
	s_wait_xcnt 0x0
	v_mul_lo_u32 v14, v22, s18
	s_and_b32 vcc_lo, exec_lo, s16
	s_mov_b32 s13, -1
	s_cbranch_vccz .LBB88_33
; %bb.32:                               ;   in Loop: Header=BB88_13 Depth=1
	v_lshl_add_u64 v[16:17], v[12:13], 2, v[6:7]
	s_mov_b32 s13, 0
	global_store_b32 v[16:17], v14, off
.LBB88_33:                              ;   in Loop: Header=BB88_13 Depth=1
	s_and_not1_b32 vcc_lo, exec_lo, s13
	s_cbranch_vccnz .LBB88_12
; %bb.34:                               ;   in Loop: Header=BB88_13 Depth=1
	v_mul_u64_e32 v[12:13], s[14:15], v[12:13]
	s_delay_alu instid0(VALU_DEP_1)
	v_lshl_add_u64 v[12:13], v[12:13], 2, v[2:3]
	global_store_b32 v[12:13], v14, off
	s_branch .LBB88_12
.LBB88_35:
	s_endpgm
	.section	.rodata,"a",@progbits
	.p2align	6, 0x0
	.amdhsa_kernel _ZN9rocsparseL29bsrmmnt_small_blockdim_kernelILj64ELj64ELj2EliaaiiEEv20rocsparse_direction_T3_S2_llNS_24const_host_device_scalarIT7_EEPKT2_PKS2_PKT4_PKT5_llS5_PT6_ll16rocsparse_order_21rocsparse_index_base_b
		.amdhsa_group_segment_fixed_size 448
		.amdhsa_private_segment_fixed_size 0
		.amdhsa_kernarg_size 392
		.amdhsa_user_sgpr_count 2
		.amdhsa_user_sgpr_dispatch_ptr 0
		.amdhsa_user_sgpr_queue_ptr 0
		.amdhsa_user_sgpr_kernarg_segment_ptr 1
		.amdhsa_user_sgpr_dispatch_id 0
		.amdhsa_user_sgpr_kernarg_preload_length 0
		.amdhsa_user_sgpr_kernarg_preload_offset 0
		.amdhsa_user_sgpr_private_segment_size 0
		.amdhsa_wavefront_size32 1
		.amdhsa_uses_dynamic_stack 0
		.amdhsa_enable_private_segment 0
		.amdhsa_system_sgpr_workgroup_id_x 1
		.amdhsa_system_sgpr_workgroup_id_y 0
		.amdhsa_system_sgpr_workgroup_id_z 0
		.amdhsa_system_sgpr_workgroup_info 0
		.amdhsa_system_vgpr_workitem_id 0
		.amdhsa_next_free_vgpr 37
		.amdhsa_next_free_sgpr 35
		.amdhsa_named_barrier_count 0
		.amdhsa_reserve_vcc 1
		.amdhsa_float_round_mode_32 0
		.amdhsa_float_round_mode_16_64 0
		.amdhsa_float_denorm_mode_32 3
		.amdhsa_float_denorm_mode_16_64 3
		.amdhsa_fp16_overflow 0
		.amdhsa_memory_ordered 1
		.amdhsa_forward_progress 1
		.amdhsa_inst_pref_size 12
		.amdhsa_round_robin_scheduling 0
		.amdhsa_exception_fp_ieee_invalid_op 0
		.amdhsa_exception_fp_denorm_src 0
		.amdhsa_exception_fp_ieee_div_zero 0
		.amdhsa_exception_fp_ieee_overflow 0
		.amdhsa_exception_fp_ieee_underflow 0
		.amdhsa_exception_fp_ieee_inexact 0
		.amdhsa_exception_int_div_zero 0
	.end_amdhsa_kernel
	.section	.text._ZN9rocsparseL29bsrmmnt_small_blockdim_kernelILj64ELj64ELj2EliaaiiEEv20rocsparse_direction_T3_S2_llNS_24const_host_device_scalarIT7_EEPKT2_PKS2_PKT4_PKT5_llS5_PT6_ll16rocsparse_order_21rocsparse_index_base_b,"axG",@progbits,_ZN9rocsparseL29bsrmmnt_small_blockdim_kernelILj64ELj64ELj2EliaaiiEEv20rocsparse_direction_T3_S2_llNS_24const_host_device_scalarIT7_EEPKT2_PKS2_PKT4_PKT5_llS5_PT6_ll16rocsparse_order_21rocsparse_index_base_b,comdat
.Lfunc_end88:
	.size	_ZN9rocsparseL29bsrmmnt_small_blockdim_kernelILj64ELj64ELj2EliaaiiEEv20rocsparse_direction_T3_S2_llNS_24const_host_device_scalarIT7_EEPKT2_PKS2_PKT4_PKT5_llS5_PT6_ll16rocsparse_order_21rocsparse_index_base_b, .Lfunc_end88-_ZN9rocsparseL29bsrmmnt_small_blockdim_kernelILj64ELj64ELj2EliaaiiEEv20rocsparse_direction_T3_S2_llNS_24const_host_device_scalarIT7_EEPKT2_PKS2_PKT4_PKT5_llS5_PT6_ll16rocsparse_order_21rocsparse_index_base_b
                                        ; -- End function
	.set _ZN9rocsparseL29bsrmmnt_small_blockdim_kernelILj64ELj64ELj2EliaaiiEEv20rocsparse_direction_T3_S2_llNS_24const_host_device_scalarIT7_EEPKT2_PKS2_PKT4_PKT5_llS5_PT6_ll16rocsparse_order_21rocsparse_index_base_b.num_vgpr, 37
	.set _ZN9rocsparseL29bsrmmnt_small_blockdim_kernelILj64ELj64ELj2EliaaiiEEv20rocsparse_direction_T3_S2_llNS_24const_host_device_scalarIT7_EEPKT2_PKS2_PKT4_PKT5_llS5_PT6_ll16rocsparse_order_21rocsparse_index_base_b.num_agpr, 0
	.set _ZN9rocsparseL29bsrmmnt_small_blockdim_kernelILj64ELj64ELj2EliaaiiEEv20rocsparse_direction_T3_S2_llNS_24const_host_device_scalarIT7_EEPKT2_PKS2_PKT4_PKT5_llS5_PT6_ll16rocsparse_order_21rocsparse_index_base_b.numbered_sgpr, 35
	.set _ZN9rocsparseL29bsrmmnt_small_blockdim_kernelILj64ELj64ELj2EliaaiiEEv20rocsparse_direction_T3_S2_llNS_24const_host_device_scalarIT7_EEPKT2_PKS2_PKT4_PKT5_llS5_PT6_ll16rocsparse_order_21rocsparse_index_base_b.num_named_barrier, 0
	.set _ZN9rocsparseL29bsrmmnt_small_blockdim_kernelILj64ELj64ELj2EliaaiiEEv20rocsparse_direction_T3_S2_llNS_24const_host_device_scalarIT7_EEPKT2_PKS2_PKT4_PKT5_llS5_PT6_ll16rocsparse_order_21rocsparse_index_base_b.private_seg_size, 0
	.set _ZN9rocsparseL29bsrmmnt_small_blockdim_kernelILj64ELj64ELj2EliaaiiEEv20rocsparse_direction_T3_S2_llNS_24const_host_device_scalarIT7_EEPKT2_PKS2_PKT4_PKT5_llS5_PT6_ll16rocsparse_order_21rocsparse_index_base_b.uses_vcc, 1
	.set _ZN9rocsparseL29bsrmmnt_small_blockdim_kernelILj64ELj64ELj2EliaaiiEEv20rocsparse_direction_T3_S2_llNS_24const_host_device_scalarIT7_EEPKT2_PKS2_PKT4_PKT5_llS5_PT6_ll16rocsparse_order_21rocsparse_index_base_b.uses_flat_scratch, 0
	.set _ZN9rocsparseL29bsrmmnt_small_blockdim_kernelILj64ELj64ELj2EliaaiiEEv20rocsparse_direction_T3_S2_llNS_24const_host_device_scalarIT7_EEPKT2_PKS2_PKT4_PKT5_llS5_PT6_ll16rocsparse_order_21rocsparse_index_base_b.has_dyn_sized_stack, 0
	.set _ZN9rocsparseL29bsrmmnt_small_blockdim_kernelILj64ELj64ELj2EliaaiiEEv20rocsparse_direction_T3_S2_llNS_24const_host_device_scalarIT7_EEPKT2_PKS2_PKT4_PKT5_llS5_PT6_ll16rocsparse_order_21rocsparse_index_base_b.has_recursion, 0
	.set _ZN9rocsparseL29bsrmmnt_small_blockdim_kernelILj64ELj64ELj2EliaaiiEEv20rocsparse_direction_T3_S2_llNS_24const_host_device_scalarIT7_EEPKT2_PKS2_PKT4_PKT5_llS5_PT6_ll16rocsparse_order_21rocsparse_index_base_b.has_indirect_call, 0
	.section	.AMDGPU.csdata,"",@progbits
; Kernel info:
; codeLenInByte = 1496
; TotalNumSgprs: 37
; NumVgprs: 37
; ScratchSize: 0
; MemoryBound: 0
; FloatMode: 240
; IeeeMode: 1
; LDSByteSize: 448 bytes/workgroup (compile time only)
; SGPRBlocks: 0
; VGPRBlocks: 2
; NumSGPRsForWavesPerEU: 37
; NumVGPRsForWavesPerEU: 37
; NamedBarCnt: 0
; Occupancy: 16
; WaveLimiterHint : 0
; COMPUTE_PGM_RSRC2:SCRATCH_EN: 0
; COMPUTE_PGM_RSRC2:USER_SGPR: 2
; COMPUTE_PGM_RSRC2:TRAP_HANDLER: 0
; COMPUTE_PGM_RSRC2:TGID_X_EN: 1
; COMPUTE_PGM_RSRC2:TGID_Y_EN: 0
; COMPUTE_PGM_RSRC2:TGID_Z_EN: 0
; COMPUTE_PGM_RSRC2:TIDIG_COMP_CNT: 0
	.section	.text._ZN9rocsparseL29bsrmmnt_small_blockdim_kernelILj64ELj8ELj2EllaaiiEEv20rocsparse_direction_T3_S2_llNS_24const_host_device_scalarIT7_EEPKT2_PKS2_PKT4_PKT5_llS5_PT6_ll16rocsparse_order_21rocsparse_index_base_b,"axG",@progbits,_ZN9rocsparseL29bsrmmnt_small_blockdim_kernelILj64ELj8ELj2EllaaiiEEv20rocsparse_direction_T3_S2_llNS_24const_host_device_scalarIT7_EEPKT2_PKS2_PKT4_PKT5_llS5_PT6_ll16rocsparse_order_21rocsparse_index_base_b,comdat
	.globl	_ZN9rocsparseL29bsrmmnt_small_blockdim_kernelILj64ELj8ELj2EllaaiiEEv20rocsparse_direction_T3_S2_llNS_24const_host_device_scalarIT7_EEPKT2_PKS2_PKT4_PKT5_llS5_PT6_ll16rocsparse_order_21rocsparse_index_base_b ; -- Begin function _ZN9rocsparseL29bsrmmnt_small_blockdim_kernelILj64ELj8ELj2EllaaiiEEv20rocsparse_direction_T3_S2_llNS_24const_host_device_scalarIT7_EEPKT2_PKS2_PKT4_PKT5_llS5_PT6_ll16rocsparse_order_21rocsparse_index_base_b
	.p2align	8
	.type	_ZN9rocsparseL29bsrmmnt_small_blockdim_kernelILj64ELj8ELj2EllaaiiEEv20rocsparse_direction_T3_S2_llNS_24const_host_device_scalarIT7_EEPKT2_PKS2_PKT4_PKT5_llS5_PT6_ll16rocsparse_order_21rocsparse_index_base_b,@function
_ZN9rocsparseL29bsrmmnt_small_blockdim_kernelILj64ELj8ELj2EllaaiiEEv20rocsparse_direction_T3_S2_llNS_24const_host_device_scalarIT7_EEPKT2_PKS2_PKT4_PKT5_llS5_PT6_ll16rocsparse_order_21rocsparse_index_base_b: ; @_ZN9rocsparseL29bsrmmnt_small_blockdim_kernelILj64ELj8ELj2EllaaiiEEv20rocsparse_direction_T3_S2_llNS_24const_host_device_scalarIT7_EEPKT2_PKS2_PKT4_PKT5_llS5_PT6_ll16rocsparse_order_21rocsparse_index_base_b
; %bb.0:
	s_clause 0x1
	s_load_b96 s[20:22], s[0:1], 0x80
	s_load_b64 s[4:5], s[0:1], 0x28
	s_mov_b32 s7, -1
	s_wait_kmcnt 0x0
	s_bitcmp1_b32 s22, 0
                                        ; implicit-def: $sgpr22
	s_cselect_b32 s2, -1, 0
	s_delay_alu instid0(SALU_CYCLE_1) | instskip(NEXT) | instid1(SALU_CYCLE_1)
	s_xor_b32 s6, s2, -1
	s_and_b32 vcc_lo, exec_lo, s6
	s_cbranch_vccnz .LBB89_4
; %bb.1:
	s_load_b64 s[2:3], s[0:1], 0x60
	s_and_not1_b32 vcc_lo, exec_lo, s7
	s_cbranch_vccz .LBB89_5
.LBB89_2:
	s_and_b32 vcc_lo, exec_lo, s6
	s_cbranch_vccz .LBB89_6
.LBB89_3:
	s_wait_kmcnt 0x0
	s_load_b32 s23, s[2:3], 0x0
	s_wait_xcnt 0x0
	s_cbranch_execz .LBB89_7
	s_branch .LBB89_8
.LBB89_4:
	s_load_b32 s22, s[4:5], 0x0
	s_load_b64 s[2:3], s[0:1], 0x60
	s_cbranch_execnz .LBB89_2
.LBB89_5:
	s_wait_kmcnt 0x0
	s_mov_b32 s22, s4
	s_and_b32 vcc_lo, exec_lo, s6
	s_cbranch_vccnz .LBB89_3
.LBB89_6:
	s_wait_kmcnt 0x0
                                        ; implicit-def: $sgpr23
.LBB89_7:
	s_wait_kmcnt 0x0
	s_mov_b32 s23, s2
.LBB89_8:
	s_cmp_eq_u32 s22, 0
	s_cselect_b32 s2, -1, 0
	s_wait_kmcnt 0x0
	s_cmp_eq_u32 s23, 1
	s_cselect_b32 s3, -1, 0
	s_delay_alu instid0(SALU_CYCLE_1) | instskip(NEXT) | instid1(SALU_CYCLE_1)
	s_and_b32 s2, s2, s3
	s_and_b32 vcc_lo, exec_lo, s2
	s_cbranch_vccnz .LBB89_34
; %bb.9:
	s_clause 0x1
	s_load_b32 s2, s[0:1], 0x9c
	s_load_b128 s[12:15], s[0:1], 0x8
	s_bfe_u32 s3, ttmp6, 0x4000c
	s_and_b32 s4, ttmp6, 15
	s_add_co_i32 s3, s3, 1
	s_getreg_b32 s5, hwreg(HW_REG_IB_STS2, 6, 4)
	s_mul_i32 s3, ttmp9, s3
	s_delay_alu instid0(SALU_CYCLE_1) | instskip(SKIP_4) | instid1(SALU_CYCLE_1)
	s_add_co_i32 s4, s4, s3
	s_wait_kmcnt 0x0
	s_and_b32 s2, s2, 0xffff
	s_cmp_eq_u32 s5, 0
	s_cselect_b32 s3, ttmp9, s4
	v_mad_u32 v1, s3, s2, v0
	v_mov_b32_e32 v3, 0
	s_mov_b32 s2, exec_lo
	s_delay_alu instid0(VALU_DEP_2) | instskip(NEXT) | instid1(VALU_DEP_1)
	v_lshrrev_b32_e32 v2, 4, v1
	v_cmpx_gt_i64_e64 s[12:13], v[2:3]
	s_cbranch_execz .LBB89_34
; %bb.10:
	v_cmp_lt_i64_e64 s2, s[14:15], 1
	s_and_b32 vcc_lo, exec_lo, s2
	s_cbranch_vccnz .LBB89_34
; %bb.11:
	s_load_b256 s[4:11], s[0:1], 0x30
	v_dual_mov_b32 v3, 0 :: v_dual_lshlrev_b32 v2, 3, v2
	s_clause 0x1
	s_load_b128 s[16:19], s[0:1], 0x68
	s_load_b64 s[2:3], s[0:1], 0x50
	v_bfe_u32 v6, v1, 3, 1
	s_wait_xcnt 0x0
	s_load_b32 s0, s[0:1], 0x0
	s_mov_b64 s[12:13], 0
	v_dual_lshrrev_b32 v8, 3, v0 :: v_dual_bitop2_b32 v0, 7, v0 bitop3:0x40
	s_delay_alu instid0(VALU_DEP_1) | instskip(SKIP_1) | instid1(VALU_DEP_3)
	v_dual_mov_b32 v7, v3 :: v_dual_lshlrev_b32 v22, 6, v8
	v_mul_u32_u24_e32 v8, 24, v8
	v_mul_u32_u24_e32 v16, 3, v0
	s_delay_alu instid0(VALU_DEP_2)
	v_or_b32_e32 v24, 0x200, v8
	s_wait_kmcnt 0x0
	global_load_b128 v[10:13], v2, s[4:5]
	s_wait_xcnt 0x0
	v_lshrrev_b32_e32 v2, 3, v1
	s_mov_b32 s5, 0
	s_mov_b32 s4, s21
	v_mov_b32_e32 v1, v3
	v_lshl_or_b32 v23, v0, 3, v22
	v_mul_u64_e32 v[4:5], s[18:19], v[2:3]
	s_cmp_eq_u32 s0, 0
	v_dual_lshlrev_b32 v2, 2, v2 :: v_dual_add_nc_u32 v25, v24, v16
	s_cselect_b32 s1, -1, 0
	s_cmp_lg_u32 s23, 0
	v_cndmask_b32_e64 v9, 0, 1, s1
	s_delay_alu instid0(VALU_DEP_2) | instskip(SKIP_2) | instid1(VALU_DEP_2)
	v_add_nc_u64_e32 v[2:3], s[16:17], v[2:3]
	s_cselect_b32 s21, -1, 0
	s_cmp_lg_u32 s20, 1
	v_lshlrev_b64_e32 v[14:15], v9, v[6:7]
	s_cselect_b32 s20, -1, 0
	s_and_b32 s1, s1, exec_lo
	v_lshl_add_u64 v[4:5], v[4:5], 2, s[16:17]
	s_wait_loadcnt 0x0
	v_sub_nc_u64_e64 v[6:7], v[10:11], s[4:5]
	v_sub_nc_u64_e64 v[8:9], v[12:13], s[4:5]
	v_cmp_lt_i64_e64 s0, v[10:11], v[12:13]
	v_add_nc_u64_e32 v[10:11], s[8:9], v[14:15]
	s_cselect_b32 s8, 1, 2
	s_mov_b32 s9, s5
	s_branch .LBB89_13
.LBB89_12:                              ;   in Loop: Header=BB89_13 Depth=1
	s_wait_xcnt 0x0
	s_or_b32 exec_lo, exec_lo, s1
	s_add_nc_u64 s[12:13], s[12:13], 8
	s_delay_alu instid0(SALU_CYCLE_1)
	v_cmp_lt_i64_e64 s1, s[12:13], s[14:15]
	s_and_b32 vcc_lo, exec_lo, s1
	s_cbranch_vccz .LBB89_34
.LBB89_13:                              ; =>This Loop Header: Depth=1
                                        ;     Child Loop BB89_16 Depth 2
                                        ;       Child Loop BB89_20 Depth 3
	v_dual_mov_b32 v13, s13 :: v_dual_bitop2_b32 v12, s12, v0 bitop3:0x54
	v_mov_b32_e32 v26, 0
	s_and_saveexec_b32 s16, s0
	s_cbranch_execz .LBB89_22
; %bb.14:                               ;   in Loop: Header=BB89_13 Depth=1
	s_delay_alu instid0(VALU_DEP_2)
	v_add_nc_u64_e32 v[14:15], s[10:11], v[12:13]
	v_mov_b64_e32 v[16:17], v[6:7]
	v_mov_b32_e32 v26, 0
	s_mov_b32 s17, 0
	v_cmp_gt_i64_e32 vcc_lo, s[14:15], v[12:13]
	s_branch .LBB89_16
.LBB89_15:                              ;   in Loop: Header=BB89_16 Depth=2
	s_wait_xcnt 0x0
	s_or_b32 exec_lo, exec_lo, s1
	v_add_nc_u64_e32 v[16:17], 8, v[16:17]
	s_delay_alu instid0(VALU_DEP_1) | instskip(SKIP_1) | instid1(SALU_CYCLE_1)
	v_cmp_ge_i64_e64 s1, v[16:17], v[8:9]
	s_or_b32 s17, s1, s17
	s_and_not1_b32 exec_lo, exec_lo, s17
	s_cbranch_execz .LBB89_21
.LBB89_16:                              ;   Parent Loop BB89_13 Depth=1
                                        ; =>  This Loop Header: Depth=2
                                        ;       Child Loop BB89_20 Depth 3
	s_delay_alu instid0(VALU_DEP_3) | instskip(SKIP_3) | instid1(VALU_DEP_3)
	v_add_nc_u64_e32 v[20:21], v[16:17], v[0:1]
	v_mov_b64_e32 v[18:19], 0
	v_dual_mov_b32 v27, 0 :: v_dual_mov_b32 v28, 0
	s_mov_b32 s24, exec_lo
	v_cmpx_lt_i64_e64 v[20:21], v[8:9]
	s_cbranch_execz .LBB89_18
; %bb.17:                               ;   in Loop: Header=BB89_16 Depth=2
	v_lshl_add_u64 v[18:19], v[20:21], 3, s[6:7]
	v_lshl_add_u64 v[20:21], v[20:21], 2, v[10:11]
	global_load_b64 v[18:19], v[18:19], off
	v_add_nc_u64_e32 v[30:31], s[8:9], v[20:21]
	s_clause 0x1
	global_load_u8 v27, v[20:21], off
	global_load_u8 v28, v[30:31], off
	s_wait_loadcnt 0x2
	s_wait_xcnt 0x2
	v_sub_nc_u64_e64 v[18:19], v[18:19], s[4:5]
	s_delay_alu instid0(VALU_DEP_1)
	v_lshlrev_b64_e32 v[18:19], 1, v[18:19]
.LBB89_18:                              ;   in Loop: Header=BB89_16 Depth=2
	s_wait_xcnt 0x0
	s_or_b32 exec_lo, exec_lo, s24
	ds_store_b64 v23, v[18:19]
	s_wait_loadcnt 0x1
	ds_store_b8 v25, v27
	s_wait_loadcnt 0x0
	ds_store_b8 v25, v28 offset:1
	s_wait_dscnt 0x0
	s_barrier_signal -1
	s_barrier_wait -1
	s_and_saveexec_b32 s1, vcc_lo
	s_cbranch_execz .LBB89_15
; %bb.19:                               ;   in Loop: Header=BB89_16 Depth=2
	v_mov_b32_e32 v18, v22
	s_mov_b32 s24, 0
.LBB89_20:                              ;   Parent Loop BB89_13 Depth=1
                                        ;     Parent Loop BB89_16 Depth=2
                                        ; =>    This Inner Loop Header: Depth=3
	s_wait_xcnt 0x0
	ds_load_b128 v[28:31], v18
	v_add_nc_u32_e32 v18, 16, v18
	s_wait_dscnt 0x0
	v_mad_nc_u64_u32 v[20:21], v28, s2, v[14:15]
	v_mad_nc_u64_u32 v[32:33], v30, s2, v[14:15]
	s_delay_alu instid0(VALU_DEP_2) | instskip(NEXT) | instid1(VALU_DEP_2)
	v_mad_u32 v19, v29, s2, v21
	v_mad_u32 v27, v31, s2, v33
	s_delay_alu instid0(VALU_DEP_2) | instskip(NEXT) | instid1(VALU_DEP_2)
	v_mad_u32 v21, v28, s3, v19
	v_mad_u32 v33, v30, s3, v27
	s_delay_alu instid0(VALU_DEP_2) | instskip(NEXT) | instid1(VALU_DEP_2)
	v_add_nc_u64_e32 v[28:29], s[2:3], v[20:21]
	v_add_nc_u64_e32 v[30:31], s[2:3], v[32:33]
	s_clause 0x3
	global_load_i8 v19, v[20:21], off
	global_load_i8 v27, v[32:33], off
	global_load_i8 v34, v[28:29], off
	global_load_i8 v35, v[30:31], off
	s_wait_loadcnt 0x1
	v_perm_b32 v19, v34, v19, 0xc0c0400
	s_wait_loadcnt 0x0
	v_perm_b32 v27, v35, v27, 0x4000c0c
	s_wait_xcnt 0x3
	v_add_nc_u32_e32 v20, s24, v24
	s_add_co_i32 s24, s24, 6
	s_delay_alu instid0(SALU_CYCLE_1)
	s_cmp_lg_u32 s24, 24
	v_or_b32_e32 v19, v27, v19
	ds_load_u16 v21, v20
	s_wait_xcnt 0x1
	ds_load_i8 v28, v20 offset:3
	ds_load_i8 v20, v20 offset:4
	s_wait_dscnt 0x2
	v_perm_b32 v21, v21, v21, 0xc0c0100
	s_wait_dscnt 0x0
	v_perm_b32 v20, v20, v28, 0x4000c0c
	s_delay_alu instid0(VALU_DEP_1) | instskip(NEXT) | instid1(VALU_DEP_1)
	v_or_b32_e32 v20, v20, v21
	v_dot4_i32_iu8 v26, v20, v19, v26 neg_lo:[1,1,0]
	s_cbranch_scc1 .LBB89_20
	s_branch .LBB89_15
.LBB89_21:                              ;   in Loop: Header=BB89_13 Depth=1
	s_or_b32 exec_lo, exec_lo, s17
.LBB89_22:                              ;   in Loop: Header=BB89_13 Depth=1
	s_delay_alu instid0(SALU_CYCLE_1) | instskip(NEXT) | instid1(SALU_CYCLE_1)
	s_or_b32 exec_lo, exec_lo, s16
	s_mov_b32 s1, exec_lo
	v_cmpx_gt_i64_e64 s[14:15], v[12:13]
	s_cbranch_execz .LBB89_12
; %bb.23:                               ;   in Loop: Header=BB89_13 Depth=1
	s_and_b32 vcc_lo, exec_lo, s21
	s_cbranch_vccz .LBB89_29
; %bb.24:                               ;   in Loop: Header=BB89_13 Depth=1
	s_and_b32 vcc_lo, exec_lo, s20
	s_mov_b32 s16, -1
	s_cbranch_vccz .LBB89_26
; %bb.25:                               ;   in Loop: Header=BB89_13 Depth=1
	v_lshl_add_u64 v[14:15], v[12:13], 2, v[4:5]
	v_mul_lo_u32 v17, v26, s22
	s_mov_b32 s16, 0
	global_load_b32 v16, v[14:15], off
	s_wait_loadcnt 0x0
	v_mad_u32 v16, v16, s23, v17
	global_store_b32 v[14:15], v16, off
.LBB89_26:                              ;   in Loop: Header=BB89_13 Depth=1
	s_and_not1_b32 vcc_lo, exec_lo, s16
	s_cbranch_vccnz .LBB89_28
; %bb.27:                               ;   in Loop: Header=BB89_13 Depth=1
	s_wait_xcnt 0x0
	v_mul_u64_e32 v[14:15], s[18:19], v[12:13]
	v_mul_lo_u32 v17, v26, s22
	s_delay_alu instid0(VALU_DEP_2)
	v_lshl_add_u64 v[14:15], v[14:15], 2, v[2:3]
	global_load_b32 v16, v[14:15], off
	s_wait_loadcnt 0x0
	v_mad_u32 v16, v16, s23, v17
	global_store_b32 v[14:15], v16, off
.LBB89_28:                              ;   in Loop: Header=BB89_13 Depth=1
	s_cbranch_execnz .LBB89_12
	s_branch .LBB89_30
.LBB89_29:                              ;   in Loop: Header=BB89_13 Depth=1
.LBB89_30:                              ;   in Loop: Header=BB89_13 Depth=1
	s_wait_xcnt 0x0
	v_mul_lo_u32 v14, v26, s22
	s_and_b32 vcc_lo, exec_lo, s20
	s_mov_b32 s16, -1
	s_cbranch_vccz .LBB89_32
; %bb.31:                               ;   in Loop: Header=BB89_13 Depth=1
	v_lshl_add_u64 v[16:17], v[12:13], 2, v[4:5]
	s_mov_b32 s16, 0
	global_store_b32 v[16:17], v14, off
.LBB89_32:                              ;   in Loop: Header=BB89_13 Depth=1
	s_and_not1_b32 vcc_lo, exec_lo, s16
	s_cbranch_vccnz .LBB89_12
; %bb.33:                               ;   in Loop: Header=BB89_13 Depth=1
	v_mul_u64_e32 v[12:13], s[18:19], v[12:13]
	s_delay_alu instid0(VALU_DEP_1)
	v_lshl_add_u64 v[12:13], v[12:13], 2, v[2:3]
	global_store_b32 v[12:13], v14, off
	s_branch .LBB89_12
.LBB89_34:
	s_endpgm
	.section	.rodata,"a",@progbits
	.p2align	6, 0x0
	.amdhsa_kernel _ZN9rocsparseL29bsrmmnt_small_blockdim_kernelILj64ELj8ELj2EllaaiiEEv20rocsparse_direction_T3_S2_llNS_24const_host_device_scalarIT7_EEPKT2_PKS2_PKT4_PKT5_llS5_PT6_ll16rocsparse_order_21rocsparse_index_base_b
		.amdhsa_group_segment_fixed_size 704
		.amdhsa_private_segment_fixed_size 0
		.amdhsa_kernarg_size 400
		.amdhsa_user_sgpr_count 2
		.amdhsa_user_sgpr_dispatch_ptr 0
		.amdhsa_user_sgpr_queue_ptr 0
		.amdhsa_user_sgpr_kernarg_segment_ptr 1
		.amdhsa_user_sgpr_dispatch_id 0
		.amdhsa_user_sgpr_kernarg_preload_length 0
		.amdhsa_user_sgpr_kernarg_preload_offset 0
		.amdhsa_user_sgpr_private_segment_size 0
		.amdhsa_wavefront_size32 1
		.amdhsa_uses_dynamic_stack 0
		.amdhsa_enable_private_segment 0
		.amdhsa_system_sgpr_workgroup_id_x 1
		.amdhsa_system_sgpr_workgroup_id_y 0
		.amdhsa_system_sgpr_workgroup_id_z 0
		.amdhsa_system_sgpr_workgroup_info 0
		.amdhsa_system_vgpr_workitem_id 0
		.amdhsa_next_free_vgpr 36
		.amdhsa_next_free_sgpr 25
		.amdhsa_named_barrier_count 0
		.amdhsa_reserve_vcc 1
		.amdhsa_float_round_mode_32 0
		.amdhsa_float_round_mode_16_64 0
		.amdhsa_float_denorm_mode_32 3
		.amdhsa_float_denorm_mode_16_64 3
		.amdhsa_fp16_overflow 0
		.amdhsa_memory_ordered 1
		.amdhsa_forward_progress 1
		.amdhsa_inst_pref_size 12
		.amdhsa_round_robin_scheduling 0
		.amdhsa_exception_fp_ieee_invalid_op 0
		.amdhsa_exception_fp_denorm_src 0
		.amdhsa_exception_fp_ieee_div_zero 0
		.amdhsa_exception_fp_ieee_overflow 0
		.amdhsa_exception_fp_ieee_underflow 0
		.amdhsa_exception_fp_ieee_inexact 0
		.amdhsa_exception_int_div_zero 0
	.end_amdhsa_kernel
	.section	.text._ZN9rocsparseL29bsrmmnt_small_blockdim_kernelILj64ELj8ELj2EllaaiiEEv20rocsparse_direction_T3_S2_llNS_24const_host_device_scalarIT7_EEPKT2_PKS2_PKT4_PKT5_llS5_PT6_ll16rocsparse_order_21rocsparse_index_base_b,"axG",@progbits,_ZN9rocsparseL29bsrmmnt_small_blockdim_kernelILj64ELj8ELj2EllaaiiEEv20rocsparse_direction_T3_S2_llNS_24const_host_device_scalarIT7_EEPKT2_PKS2_PKT4_PKT5_llS5_PT6_ll16rocsparse_order_21rocsparse_index_base_b,comdat
.Lfunc_end89:
	.size	_ZN9rocsparseL29bsrmmnt_small_blockdim_kernelILj64ELj8ELj2EllaaiiEEv20rocsparse_direction_T3_S2_llNS_24const_host_device_scalarIT7_EEPKT2_PKS2_PKT4_PKT5_llS5_PT6_ll16rocsparse_order_21rocsparse_index_base_b, .Lfunc_end89-_ZN9rocsparseL29bsrmmnt_small_blockdim_kernelILj64ELj8ELj2EllaaiiEEv20rocsparse_direction_T3_S2_llNS_24const_host_device_scalarIT7_EEPKT2_PKS2_PKT4_PKT5_llS5_PT6_ll16rocsparse_order_21rocsparse_index_base_b
                                        ; -- End function
	.set _ZN9rocsparseL29bsrmmnt_small_blockdim_kernelILj64ELj8ELj2EllaaiiEEv20rocsparse_direction_T3_S2_llNS_24const_host_device_scalarIT7_EEPKT2_PKS2_PKT4_PKT5_llS5_PT6_ll16rocsparse_order_21rocsparse_index_base_b.num_vgpr, 36
	.set _ZN9rocsparseL29bsrmmnt_small_blockdim_kernelILj64ELj8ELj2EllaaiiEEv20rocsparse_direction_T3_S2_llNS_24const_host_device_scalarIT7_EEPKT2_PKS2_PKT4_PKT5_llS5_PT6_ll16rocsparse_order_21rocsparse_index_base_b.num_agpr, 0
	.set _ZN9rocsparseL29bsrmmnt_small_blockdim_kernelILj64ELj8ELj2EllaaiiEEv20rocsparse_direction_T3_S2_llNS_24const_host_device_scalarIT7_EEPKT2_PKS2_PKT4_PKT5_llS5_PT6_ll16rocsparse_order_21rocsparse_index_base_b.numbered_sgpr, 25
	.set _ZN9rocsparseL29bsrmmnt_small_blockdim_kernelILj64ELj8ELj2EllaaiiEEv20rocsparse_direction_T3_S2_llNS_24const_host_device_scalarIT7_EEPKT2_PKS2_PKT4_PKT5_llS5_PT6_ll16rocsparse_order_21rocsparse_index_base_b.num_named_barrier, 0
	.set _ZN9rocsparseL29bsrmmnt_small_blockdim_kernelILj64ELj8ELj2EllaaiiEEv20rocsparse_direction_T3_S2_llNS_24const_host_device_scalarIT7_EEPKT2_PKS2_PKT4_PKT5_llS5_PT6_ll16rocsparse_order_21rocsparse_index_base_b.private_seg_size, 0
	.set _ZN9rocsparseL29bsrmmnt_small_blockdim_kernelILj64ELj8ELj2EllaaiiEEv20rocsparse_direction_T3_S2_llNS_24const_host_device_scalarIT7_EEPKT2_PKS2_PKT4_PKT5_llS5_PT6_ll16rocsparse_order_21rocsparse_index_base_b.uses_vcc, 1
	.set _ZN9rocsparseL29bsrmmnt_small_blockdim_kernelILj64ELj8ELj2EllaaiiEEv20rocsparse_direction_T3_S2_llNS_24const_host_device_scalarIT7_EEPKT2_PKS2_PKT4_PKT5_llS5_PT6_ll16rocsparse_order_21rocsparse_index_base_b.uses_flat_scratch, 0
	.set _ZN9rocsparseL29bsrmmnt_small_blockdim_kernelILj64ELj8ELj2EllaaiiEEv20rocsparse_direction_T3_S2_llNS_24const_host_device_scalarIT7_EEPKT2_PKS2_PKT4_PKT5_llS5_PT6_ll16rocsparse_order_21rocsparse_index_base_b.has_dyn_sized_stack, 0
	.set _ZN9rocsparseL29bsrmmnt_small_blockdim_kernelILj64ELj8ELj2EllaaiiEEv20rocsparse_direction_T3_S2_llNS_24const_host_device_scalarIT7_EEPKT2_PKS2_PKT4_PKT5_llS5_PT6_ll16rocsparse_order_21rocsparse_index_base_b.has_recursion, 0
	.set _ZN9rocsparseL29bsrmmnt_small_blockdim_kernelILj64ELj8ELj2EllaaiiEEv20rocsparse_direction_T3_S2_llNS_24const_host_device_scalarIT7_EEPKT2_PKS2_PKT4_PKT5_llS5_PT6_ll16rocsparse_order_21rocsparse_index_base_b.has_indirect_call, 0
	.section	.AMDGPU.csdata,"",@progbits
; Kernel info:
; codeLenInByte = 1436
; TotalNumSgprs: 27
; NumVgprs: 36
; ScratchSize: 0
; MemoryBound: 0
; FloatMode: 240
; IeeeMode: 1
; LDSByteSize: 704 bytes/workgroup (compile time only)
; SGPRBlocks: 0
; VGPRBlocks: 2
; NumSGPRsForWavesPerEU: 27
; NumVGPRsForWavesPerEU: 36
; NamedBarCnt: 0
; Occupancy: 16
; WaveLimiterHint : 1
; COMPUTE_PGM_RSRC2:SCRATCH_EN: 0
; COMPUTE_PGM_RSRC2:USER_SGPR: 2
; COMPUTE_PGM_RSRC2:TRAP_HANDLER: 0
; COMPUTE_PGM_RSRC2:TGID_X_EN: 1
; COMPUTE_PGM_RSRC2:TGID_Y_EN: 0
; COMPUTE_PGM_RSRC2:TGID_Z_EN: 0
; COMPUTE_PGM_RSRC2:TIDIG_COMP_CNT: 0
	.section	.text._ZN9rocsparseL29bsrmmnt_small_blockdim_kernelILj64ELj16ELj2EllaaiiEEv20rocsparse_direction_T3_S2_llNS_24const_host_device_scalarIT7_EEPKT2_PKS2_PKT4_PKT5_llS5_PT6_ll16rocsparse_order_21rocsparse_index_base_b,"axG",@progbits,_ZN9rocsparseL29bsrmmnt_small_blockdim_kernelILj64ELj16ELj2EllaaiiEEv20rocsparse_direction_T3_S2_llNS_24const_host_device_scalarIT7_EEPKT2_PKS2_PKT4_PKT5_llS5_PT6_ll16rocsparse_order_21rocsparse_index_base_b,comdat
	.globl	_ZN9rocsparseL29bsrmmnt_small_blockdim_kernelILj64ELj16ELj2EllaaiiEEv20rocsparse_direction_T3_S2_llNS_24const_host_device_scalarIT7_EEPKT2_PKS2_PKT4_PKT5_llS5_PT6_ll16rocsparse_order_21rocsparse_index_base_b ; -- Begin function _ZN9rocsparseL29bsrmmnt_small_blockdim_kernelILj64ELj16ELj2EllaaiiEEv20rocsparse_direction_T3_S2_llNS_24const_host_device_scalarIT7_EEPKT2_PKS2_PKT4_PKT5_llS5_PT6_ll16rocsparse_order_21rocsparse_index_base_b
	.p2align	8
	.type	_ZN9rocsparseL29bsrmmnt_small_blockdim_kernelILj64ELj16ELj2EllaaiiEEv20rocsparse_direction_T3_S2_llNS_24const_host_device_scalarIT7_EEPKT2_PKS2_PKT4_PKT5_llS5_PT6_ll16rocsparse_order_21rocsparse_index_base_b,@function
_ZN9rocsparseL29bsrmmnt_small_blockdim_kernelILj64ELj16ELj2EllaaiiEEv20rocsparse_direction_T3_S2_llNS_24const_host_device_scalarIT7_EEPKT2_PKS2_PKT4_PKT5_llS5_PT6_ll16rocsparse_order_21rocsparse_index_base_b: ; @_ZN9rocsparseL29bsrmmnt_small_blockdim_kernelILj64ELj16ELj2EllaaiiEEv20rocsparse_direction_T3_S2_llNS_24const_host_device_scalarIT7_EEPKT2_PKS2_PKT4_PKT5_llS5_PT6_ll16rocsparse_order_21rocsparse_index_base_b
; %bb.0:
	s_clause 0x1
	s_load_b96 s[20:22], s[0:1], 0x80
	s_load_b64 s[4:5], s[0:1], 0x28
	s_mov_b32 s7, -1
	s_wait_kmcnt 0x0
	s_bitcmp1_b32 s22, 0
                                        ; implicit-def: $sgpr22
	s_cselect_b32 s2, -1, 0
	s_delay_alu instid0(SALU_CYCLE_1) | instskip(NEXT) | instid1(SALU_CYCLE_1)
	s_xor_b32 s6, s2, -1
	s_and_b32 vcc_lo, exec_lo, s6
	s_cbranch_vccnz .LBB90_4
; %bb.1:
	s_load_b64 s[2:3], s[0:1], 0x60
	s_and_not1_b32 vcc_lo, exec_lo, s7
	s_cbranch_vccz .LBB90_5
.LBB90_2:
	s_and_b32 vcc_lo, exec_lo, s6
	s_cbranch_vccz .LBB90_6
.LBB90_3:
	s_wait_kmcnt 0x0
	s_load_b32 s23, s[2:3], 0x0
	s_wait_xcnt 0x0
	s_cbranch_execz .LBB90_7
	s_branch .LBB90_8
.LBB90_4:
	s_load_b32 s22, s[4:5], 0x0
	s_load_b64 s[2:3], s[0:1], 0x60
	s_cbranch_execnz .LBB90_2
.LBB90_5:
	s_wait_kmcnt 0x0
	s_mov_b32 s22, s4
	s_and_b32 vcc_lo, exec_lo, s6
	s_cbranch_vccnz .LBB90_3
.LBB90_6:
	s_wait_kmcnt 0x0
                                        ; implicit-def: $sgpr23
.LBB90_7:
	s_wait_kmcnt 0x0
	s_mov_b32 s23, s2
.LBB90_8:
	s_cmp_eq_u32 s22, 0
	s_cselect_b32 s2, -1, 0
	s_wait_kmcnt 0x0
	s_cmp_eq_u32 s23, 1
	s_cselect_b32 s3, -1, 0
	s_delay_alu instid0(SALU_CYCLE_1) | instskip(NEXT) | instid1(SALU_CYCLE_1)
	s_and_b32 s2, s2, s3
	s_and_b32 vcc_lo, exec_lo, s2
	s_cbranch_vccnz .LBB90_34
; %bb.9:
	s_clause 0x1
	s_load_b32 s2, s[0:1], 0x9c
	s_load_b128 s[12:15], s[0:1], 0x8
	s_bfe_u32 s3, ttmp6, 0x4000c
	s_and_b32 s4, ttmp6, 15
	s_add_co_i32 s3, s3, 1
	s_getreg_b32 s5, hwreg(HW_REG_IB_STS2, 6, 4)
	s_mul_i32 s3, ttmp9, s3
	s_delay_alu instid0(SALU_CYCLE_1) | instskip(SKIP_4) | instid1(SALU_CYCLE_1)
	s_add_co_i32 s4, s4, s3
	s_wait_kmcnt 0x0
	s_and_b32 s2, s2, 0xffff
	s_cmp_eq_u32 s5, 0
	s_cselect_b32 s3, ttmp9, s4
	v_mad_u32 v1, s3, s2, v0
	v_mov_b32_e32 v3, 0
	s_mov_b32 s2, exec_lo
	s_delay_alu instid0(VALU_DEP_2) | instskip(NEXT) | instid1(VALU_DEP_1)
	v_lshrrev_b32_e32 v2, 5, v1
	v_cmpx_gt_i64_e64 s[12:13], v[2:3]
	s_cbranch_execz .LBB90_34
; %bb.10:
	v_cmp_lt_i64_e64 s2, s[14:15], 1
	s_and_b32 vcc_lo, exec_lo, s2
	s_cbranch_vccnz .LBB90_34
; %bb.11:
	s_load_b256 s[4:11], s[0:1], 0x30
	v_dual_mov_b32 v3, 0 :: v_dual_lshlrev_b32 v2, 3, v2
	s_clause 0x1
	s_load_b128 s[16:19], s[0:1], 0x68
	s_load_b64 s[2:3], s[0:1], 0x50
	v_bfe_u32 v6, v1, 4, 1
	s_wait_xcnt 0x0
	s_load_b32 s0, s[0:1], 0x0
	s_mov_b64 s[12:13], 0
	v_dual_lshrrev_b32 v8, 4, v0 :: v_dual_bitop2_b32 v0, 15, v0 bitop3:0x40
	s_delay_alu instid0(VALU_DEP_1) | instskip(SKIP_1) | instid1(VALU_DEP_3)
	v_dual_mov_b32 v7, v3 :: v_dual_lshlrev_b32 v22, 7, v8
	v_mul_u32_u24_e32 v8, 48, v8
	v_mul_u32_u24_e32 v16, 3, v0
	s_delay_alu instid0(VALU_DEP_2)
	v_or_b32_e32 v24, 0x200, v8
	s_wait_kmcnt 0x0
	global_load_b128 v[10:13], v2, s[4:5]
	s_wait_xcnt 0x0
	v_lshrrev_b32_e32 v2, 4, v1
	s_mov_b32 s5, 0
	s_mov_b32 s4, s21
	v_mov_b32_e32 v1, v3
	v_lshl_or_b32 v23, v0, 3, v22
	v_mul_u64_e32 v[4:5], s[18:19], v[2:3]
	s_cmp_eq_u32 s0, 0
	v_dual_lshlrev_b32 v2, 2, v2 :: v_dual_add_nc_u32 v25, v24, v16
	s_cselect_b32 s1, -1, 0
	s_cmp_lg_u32 s23, 0
	v_cndmask_b32_e64 v9, 0, 1, s1
	s_delay_alu instid0(VALU_DEP_2) | instskip(SKIP_2) | instid1(VALU_DEP_2)
	v_add_nc_u64_e32 v[2:3], s[16:17], v[2:3]
	s_cselect_b32 s21, -1, 0
	s_cmp_lg_u32 s20, 1
	v_lshlrev_b64_e32 v[14:15], v9, v[6:7]
	s_cselect_b32 s20, -1, 0
	s_and_b32 s1, s1, exec_lo
	v_lshl_add_u64 v[4:5], v[4:5], 2, s[16:17]
	s_wait_loadcnt 0x0
	v_sub_nc_u64_e64 v[6:7], v[10:11], s[4:5]
	v_sub_nc_u64_e64 v[8:9], v[12:13], s[4:5]
	v_cmp_lt_i64_e64 s0, v[10:11], v[12:13]
	v_add_nc_u64_e32 v[10:11], s[8:9], v[14:15]
	s_cselect_b32 s8, 1, 2
	s_mov_b32 s9, s5
	s_branch .LBB90_13
.LBB90_12:                              ;   in Loop: Header=BB90_13 Depth=1
	s_wait_xcnt 0x0
	s_or_b32 exec_lo, exec_lo, s1
	s_add_nc_u64 s[12:13], s[12:13], 16
	s_delay_alu instid0(SALU_CYCLE_1)
	v_cmp_lt_i64_e64 s1, s[12:13], s[14:15]
	s_and_b32 vcc_lo, exec_lo, s1
	s_cbranch_vccz .LBB90_34
.LBB90_13:                              ; =>This Loop Header: Depth=1
                                        ;     Child Loop BB90_16 Depth 2
                                        ;       Child Loop BB90_20 Depth 3
	v_dual_mov_b32 v13, s13 :: v_dual_bitop2_b32 v12, s12, v0 bitop3:0x54
	v_mov_b32_e32 v26, 0
	s_and_saveexec_b32 s16, s0
	s_cbranch_execz .LBB90_22
; %bb.14:                               ;   in Loop: Header=BB90_13 Depth=1
	s_delay_alu instid0(VALU_DEP_2)
	v_add_nc_u64_e32 v[14:15], s[10:11], v[12:13]
	v_mov_b64_e32 v[16:17], v[6:7]
	v_mov_b32_e32 v26, 0
	s_mov_b32 s17, 0
	v_cmp_gt_i64_e32 vcc_lo, s[14:15], v[12:13]
	s_branch .LBB90_16
.LBB90_15:                              ;   in Loop: Header=BB90_16 Depth=2
	s_wait_xcnt 0x0
	s_or_b32 exec_lo, exec_lo, s1
	v_add_nc_u64_e32 v[16:17], 16, v[16:17]
	s_delay_alu instid0(VALU_DEP_1) | instskip(SKIP_1) | instid1(SALU_CYCLE_1)
	v_cmp_ge_i64_e64 s1, v[16:17], v[8:9]
	s_or_b32 s17, s1, s17
	s_and_not1_b32 exec_lo, exec_lo, s17
	s_cbranch_execz .LBB90_21
.LBB90_16:                              ;   Parent Loop BB90_13 Depth=1
                                        ; =>  This Loop Header: Depth=2
                                        ;       Child Loop BB90_20 Depth 3
	s_delay_alu instid0(VALU_DEP_3) | instskip(SKIP_3) | instid1(VALU_DEP_3)
	v_add_nc_u64_e32 v[20:21], v[16:17], v[0:1]
	v_mov_b64_e32 v[18:19], 0
	v_dual_mov_b32 v27, 0 :: v_dual_mov_b32 v28, 0
	s_mov_b32 s24, exec_lo
	v_cmpx_lt_i64_e64 v[20:21], v[8:9]
	s_cbranch_execz .LBB90_18
; %bb.17:                               ;   in Loop: Header=BB90_16 Depth=2
	v_lshl_add_u64 v[18:19], v[20:21], 3, s[6:7]
	v_lshl_add_u64 v[20:21], v[20:21], 2, v[10:11]
	global_load_b64 v[18:19], v[18:19], off
	v_add_nc_u64_e32 v[30:31], s[8:9], v[20:21]
	s_clause 0x1
	global_load_u8 v27, v[20:21], off
	global_load_u8 v28, v[30:31], off
	s_wait_loadcnt 0x2
	s_wait_xcnt 0x2
	v_sub_nc_u64_e64 v[18:19], v[18:19], s[4:5]
	s_delay_alu instid0(VALU_DEP_1)
	v_lshlrev_b64_e32 v[18:19], 1, v[18:19]
.LBB90_18:                              ;   in Loop: Header=BB90_16 Depth=2
	s_wait_xcnt 0x0
	s_or_b32 exec_lo, exec_lo, s24
	ds_store_b64 v23, v[18:19]
	s_wait_loadcnt 0x1
	ds_store_b8 v25, v27
	s_wait_loadcnt 0x0
	ds_store_b8 v25, v28 offset:1
	s_wait_dscnt 0x0
	s_barrier_signal -1
	s_barrier_wait -1
	s_and_saveexec_b32 s1, vcc_lo
	s_cbranch_execz .LBB90_15
; %bb.19:                               ;   in Loop: Header=BB90_16 Depth=2
	v_mov_b32_e32 v18, v22
	s_mov_b32 s24, 0
.LBB90_20:                              ;   Parent Loop BB90_13 Depth=1
                                        ;     Parent Loop BB90_16 Depth=2
                                        ; =>    This Inner Loop Header: Depth=3
	s_wait_xcnt 0x0
	ds_load_b128 v[28:31], v18
	v_add_nc_u32_e32 v18, 16, v18
	s_wait_dscnt 0x0
	v_mad_nc_u64_u32 v[20:21], v28, s2, v[14:15]
	v_mad_nc_u64_u32 v[32:33], v30, s2, v[14:15]
	s_delay_alu instid0(VALU_DEP_2) | instskip(NEXT) | instid1(VALU_DEP_2)
	v_mad_u32 v19, v29, s2, v21
	v_mad_u32 v27, v31, s2, v33
	s_delay_alu instid0(VALU_DEP_2) | instskip(NEXT) | instid1(VALU_DEP_2)
	v_mad_u32 v21, v28, s3, v19
	v_mad_u32 v33, v30, s3, v27
	s_delay_alu instid0(VALU_DEP_2) | instskip(NEXT) | instid1(VALU_DEP_2)
	v_add_nc_u64_e32 v[28:29], s[2:3], v[20:21]
	v_add_nc_u64_e32 v[30:31], s[2:3], v[32:33]
	s_clause 0x3
	global_load_i8 v19, v[20:21], off
	global_load_i8 v27, v[32:33], off
	;; [unrolled: 1-line block ×4, first 2 shown]
	s_wait_loadcnt 0x1
	v_perm_b32 v19, v34, v19, 0xc0c0400
	s_wait_loadcnt 0x0
	v_perm_b32 v27, v35, v27, 0x4000c0c
	s_wait_xcnt 0x3
	v_add_nc_u32_e32 v20, s24, v24
	s_add_co_i32 s24, s24, 6
	s_delay_alu instid0(SALU_CYCLE_1)
	s_cmp_lg_u32 s24, 48
	v_or_b32_e32 v19, v27, v19
	ds_load_u16 v21, v20
	s_wait_xcnt 0x1
	ds_load_i8 v28, v20 offset:3
	ds_load_i8 v20, v20 offset:4
	s_wait_dscnt 0x2
	v_perm_b32 v21, v21, v21, 0xc0c0100
	s_wait_dscnt 0x0
	v_perm_b32 v20, v20, v28, 0x4000c0c
	s_delay_alu instid0(VALU_DEP_1) | instskip(NEXT) | instid1(VALU_DEP_1)
	v_or_b32_e32 v20, v20, v21
	v_dot4_i32_iu8 v26, v20, v19, v26 neg_lo:[1,1,0]
	s_cbranch_scc1 .LBB90_20
	s_branch .LBB90_15
.LBB90_21:                              ;   in Loop: Header=BB90_13 Depth=1
	s_or_b32 exec_lo, exec_lo, s17
.LBB90_22:                              ;   in Loop: Header=BB90_13 Depth=1
	s_delay_alu instid0(SALU_CYCLE_1) | instskip(NEXT) | instid1(SALU_CYCLE_1)
	s_or_b32 exec_lo, exec_lo, s16
	s_mov_b32 s1, exec_lo
	v_cmpx_gt_i64_e64 s[14:15], v[12:13]
	s_cbranch_execz .LBB90_12
; %bb.23:                               ;   in Loop: Header=BB90_13 Depth=1
	s_and_b32 vcc_lo, exec_lo, s21
	s_cbranch_vccz .LBB90_29
; %bb.24:                               ;   in Loop: Header=BB90_13 Depth=1
	s_and_b32 vcc_lo, exec_lo, s20
	s_mov_b32 s16, -1
	s_cbranch_vccz .LBB90_26
; %bb.25:                               ;   in Loop: Header=BB90_13 Depth=1
	v_lshl_add_u64 v[14:15], v[12:13], 2, v[4:5]
	v_mul_lo_u32 v17, v26, s22
	s_mov_b32 s16, 0
	global_load_b32 v16, v[14:15], off
	s_wait_loadcnt 0x0
	v_mad_u32 v16, v16, s23, v17
	global_store_b32 v[14:15], v16, off
.LBB90_26:                              ;   in Loop: Header=BB90_13 Depth=1
	s_and_not1_b32 vcc_lo, exec_lo, s16
	s_cbranch_vccnz .LBB90_28
; %bb.27:                               ;   in Loop: Header=BB90_13 Depth=1
	s_wait_xcnt 0x0
	v_mul_u64_e32 v[14:15], s[18:19], v[12:13]
	v_mul_lo_u32 v17, v26, s22
	s_delay_alu instid0(VALU_DEP_2)
	v_lshl_add_u64 v[14:15], v[14:15], 2, v[2:3]
	global_load_b32 v16, v[14:15], off
	s_wait_loadcnt 0x0
	v_mad_u32 v16, v16, s23, v17
	global_store_b32 v[14:15], v16, off
.LBB90_28:                              ;   in Loop: Header=BB90_13 Depth=1
	s_cbranch_execnz .LBB90_12
	s_branch .LBB90_30
.LBB90_29:                              ;   in Loop: Header=BB90_13 Depth=1
.LBB90_30:                              ;   in Loop: Header=BB90_13 Depth=1
	s_wait_xcnt 0x0
	v_mul_lo_u32 v14, v26, s22
	s_and_b32 vcc_lo, exec_lo, s20
	s_mov_b32 s16, -1
	s_cbranch_vccz .LBB90_32
; %bb.31:                               ;   in Loop: Header=BB90_13 Depth=1
	v_lshl_add_u64 v[16:17], v[12:13], 2, v[4:5]
	s_mov_b32 s16, 0
	global_store_b32 v[16:17], v14, off
.LBB90_32:                              ;   in Loop: Header=BB90_13 Depth=1
	s_and_not1_b32 vcc_lo, exec_lo, s16
	s_cbranch_vccnz .LBB90_12
; %bb.33:                               ;   in Loop: Header=BB90_13 Depth=1
	v_mul_u64_e32 v[12:13], s[18:19], v[12:13]
	s_delay_alu instid0(VALU_DEP_1)
	v_lshl_add_u64 v[12:13], v[12:13], 2, v[2:3]
	global_store_b32 v[12:13], v14, off
	s_branch .LBB90_12
.LBB90_34:
	s_endpgm
	.section	.rodata,"a",@progbits
	.p2align	6, 0x0
	.amdhsa_kernel _ZN9rocsparseL29bsrmmnt_small_blockdim_kernelILj64ELj16ELj2EllaaiiEEv20rocsparse_direction_T3_S2_llNS_24const_host_device_scalarIT7_EEPKT2_PKS2_PKT4_PKT5_llS5_PT6_ll16rocsparse_order_21rocsparse_index_base_b
		.amdhsa_group_segment_fixed_size 704
		.amdhsa_private_segment_fixed_size 0
		.amdhsa_kernarg_size 400
		.amdhsa_user_sgpr_count 2
		.amdhsa_user_sgpr_dispatch_ptr 0
		.amdhsa_user_sgpr_queue_ptr 0
		.amdhsa_user_sgpr_kernarg_segment_ptr 1
		.amdhsa_user_sgpr_dispatch_id 0
		.amdhsa_user_sgpr_kernarg_preload_length 0
		.amdhsa_user_sgpr_kernarg_preload_offset 0
		.amdhsa_user_sgpr_private_segment_size 0
		.amdhsa_wavefront_size32 1
		.amdhsa_uses_dynamic_stack 0
		.amdhsa_enable_private_segment 0
		.amdhsa_system_sgpr_workgroup_id_x 1
		.amdhsa_system_sgpr_workgroup_id_y 0
		.amdhsa_system_sgpr_workgroup_id_z 0
		.amdhsa_system_sgpr_workgroup_info 0
		.amdhsa_system_vgpr_workitem_id 0
		.amdhsa_next_free_vgpr 36
		.amdhsa_next_free_sgpr 25
		.amdhsa_named_barrier_count 0
		.amdhsa_reserve_vcc 1
		.amdhsa_float_round_mode_32 0
		.amdhsa_float_round_mode_16_64 0
		.amdhsa_float_denorm_mode_32 3
		.amdhsa_float_denorm_mode_16_64 3
		.amdhsa_fp16_overflow 0
		.amdhsa_memory_ordered 1
		.amdhsa_forward_progress 1
		.amdhsa_inst_pref_size 12
		.amdhsa_round_robin_scheduling 0
		.amdhsa_exception_fp_ieee_invalid_op 0
		.amdhsa_exception_fp_denorm_src 0
		.amdhsa_exception_fp_ieee_div_zero 0
		.amdhsa_exception_fp_ieee_overflow 0
		.amdhsa_exception_fp_ieee_underflow 0
		.amdhsa_exception_fp_ieee_inexact 0
		.amdhsa_exception_int_div_zero 0
	.end_amdhsa_kernel
	.section	.text._ZN9rocsparseL29bsrmmnt_small_blockdim_kernelILj64ELj16ELj2EllaaiiEEv20rocsparse_direction_T3_S2_llNS_24const_host_device_scalarIT7_EEPKT2_PKS2_PKT4_PKT5_llS5_PT6_ll16rocsparse_order_21rocsparse_index_base_b,"axG",@progbits,_ZN9rocsparseL29bsrmmnt_small_blockdim_kernelILj64ELj16ELj2EllaaiiEEv20rocsparse_direction_T3_S2_llNS_24const_host_device_scalarIT7_EEPKT2_PKS2_PKT4_PKT5_llS5_PT6_ll16rocsparse_order_21rocsparse_index_base_b,comdat
.Lfunc_end90:
	.size	_ZN9rocsparseL29bsrmmnt_small_blockdim_kernelILj64ELj16ELj2EllaaiiEEv20rocsparse_direction_T3_S2_llNS_24const_host_device_scalarIT7_EEPKT2_PKS2_PKT4_PKT5_llS5_PT6_ll16rocsparse_order_21rocsparse_index_base_b, .Lfunc_end90-_ZN9rocsparseL29bsrmmnt_small_blockdim_kernelILj64ELj16ELj2EllaaiiEEv20rocsparse_direction_T3_S2_llNS_24const_host_device_scalarIT7_EEPKT2_PKS2_PKT4_PKT5_llS5_PT6_ll16rocsparse_order_21rocsparse_index_base_b
                                        ; -- End function
	.set _ZN9rocsparseL29bsrmmnt_small_blockdim_kernelILj64ELj16ELj2EllaaiiEEv20rocsparse_direction_T3_S2_llNS_24const_host_device_scalarIT7_EEPKT2_PKS2_PKT4_PKT5_llS5_PT6_ll16rocsparse_order_21rocsparse_index_base_b.num_vgpr, 36
	.set _ZN9rocsparseL29bsrmmnt_small_blockdim_kernelILj64ELj16ELj2EllaaiiEEv20rocsparse_direction_T3_S2_llNS_24const_host_device_scalarIT7_EEPKT2_PKS2_PKT4_PKT5_llS5_PT6_ll16rocsparse_order_21rocsparse_index_base_b.num_agpr, 0
	.set _ZN9rocsparseL29bsrmmnt_small_blockdim_kernelILj64ELj16ELj2EllaaiiEEv20rocsparse_direction_T3_S2_llNS_24const_host_device_scalarIT7_EEPKT2_PKS2_PKT4_PKT5_llS5_PT6_ll16rocsparse_order_21rocsparse_index_base_b.numbered_sgpr, 25
	.set _ZN9rocsparseL29bsrmmnt_small_blockdim_kernelILj64ELj16ELj2EllaaiiEEv20rocsparse_direction_T3_S2_llNS_24const_host_device_scalarIT7_EEPKT2_PKS2_PKT4_PKT5_llS5_PT6_ll16rocsparse_order_21rocsparse_index_base_b.num_named_barrier, 0
	.set _ZN9rocsparseL29bsrmmnt_small_blockdim_kernelILj64ELj16ELj2EllaaiiEEv20rocsparse_direction_T3_S2_llNS_24const_host_device_scalarIT7_EEPKT2_PKS2_PKT4_PKT5_llS5_PT6_ll16rocsparse_order_21rocsparse_index_base_b.private_seg_size, 0
	.set _ZN9rocsparseL29bsrmmnt_small_blockdim_kernelILj64ELj16ELj2EllaaiiEEv20rocsparse_direction_T3_S2_llNS_24const_host_device_scalarIT7_EEPKT2_PKS2_PKT4_PKT5_llS5_PT6_ll16rocsparse_order_21rocsparse_index_base_b.uses_vcc, 1
	.set _ZN9rocsparseL29bsrmmnt_small_blockdim_kernelILj64ELj16ELj2EllaaiiEEv20rocsparse_direction_T3_S2_llNS_24const_host_device_scalarIT7_EEPKT2_PKS2_PKT4_PKT5_llS5_PT6_ll16rocsparse_order_21rocsparse_index_base_b.uses_flat_scratch, 0
	.set _ZN9rocsparseL29bsrmmnt_small_blockdim_kernelILj64ELj16ELj2EllaaiiEEv20rocsparse_direction_T3_S2_llNS_24const_host_device_scalarIT7_EEPKT2_PKS2_PKT4_PKT5_llS5_PT6_ll16rocsparse_order_21rocsparse_index_base_b.has_dyn_sized_stack, 0
	.set _ZN9rocsparseL29bsrmmnt_small_blockdim_kernelILj64ELj16ELj2EllaaiiEEv20rocsparse_direction_T3_S2_llNS_24const_host_device_scalarIT7_EEPKT2_PKS2_PKT4_PKT5_llS5_PT6_ll16rocsparse_order_21rocsparse_index_base_b.has_recursion, 0
	.set _ZN9rocsparseL29bsrmmnt_small_blockdim_kernelILj64ELj16ELj2EllaaiiEEv20rocsparse_direction_T3_S2_llNS_24const_host_device_scalarIT7_EEPKT2_PKS2_PKT4_PKT5_llS5_PT6_ll16rocsparse_order_21rocsparse_index_base_b.has_indirect_call, 0
	.section	.AMDGPU.csdata,"",@progbits
; Kernel info:
; codeLenInByte = 1436
; TotalNumSgprs: 27
; NumVgprs: 36
; ScratchSize: 0
; MemoryBound: 0
; FloatMode: 240
; IeeeMode: 1
; LDSByteSize: 704 bytes/workgroup (compile time only)
; SGPRBlocks: 0
; VGPRBlocks: 2
; NumSGPRsForWavesPerEU: 27
; NumVGPRsForWavesPerEU: 36
; NamedBarCnt: 0
; Occupancy: 16
; WaveLimiterHint : 1
; COMPUTE_PGM_RSRC2:SCRATCH_EN: 0
; COMPUTE_PGM_RSRC2:USER_SGPR: 2
; COMPUTE_PGM_RSRC2:TRAP_HANDLER: 0
; COMPUTE_PGM_RSRC2:TGID_X_EN: 1
; COMPUTE_PGM_RSRC2:TGID_Y_EN: 0
; COMPUTE_PGM_RSRC2:TGID_Z_EN: 0
; COMPUTE_PGM_RSRC2:TIDIG_COMP_CNT: 0
	.section	.text._ZN9rocsparseL29bsrmmnt_small_blockdim_kernelILj64ELj32ELj2EllaaiiEEv20rocsparse_direction_T3_S2_llNS_24const_host_device_scalarIT7_EEPKT2_PKS2_PKT4_PKT5_llS5_PT6_ll16rocsparse_order_21rocsparse_index_base_b,"axG",@progbits,_ZN9rocsparseL29bsrmmnt_small_blockdim_kernelILj64ELj32ELj2EllaaiiEEv20rocsparse_direction_T3_S2_llNS_24const_host_device_scalarIT7_EEPKT2_PKS2_PKT4_PKT5_llS5_PT6_ll16rocsparse_order_21rocsparse_index_base_b,comdat
	.globl	_ZN9rocsparseL29bsrmmnt_small_blockdim_kernelILj64ELj32ELj2EllaaiiEEv20rocsparse_direction_T3_S2_llNS_24const_host_device_scalarIT7_EEPKT2_PKS2_PKT4_PKT5_llS5_PT6_ll16rocsparse_order_21rocsparse_index_base_b ; -- Begin function _ZN9rocsparseL29bsrmmnt_small_blockdim_kernelILj64ELj32ELj2EllaaiiEEv20rocsparse_direction_T3_S2_llNS_24const_host_device_scalarIT7_EEPKT2_PKS2_PKT4_PKT5_llS5_PT6_ll16rocsparse_order_21rocsparse_index_base_b
	.p2align	8
	.type	_ZN9rocsparseL29bsrmmnt_small_blockdim_kernelILj64ELj32ELj2EllaaiiEEv20rocsparse_direction_T3_S2_llNS_24const_host_device_scalarIT7_EEPKT2_PKS2_PKT4_PKT5_llS5_PT6_ll16rocsparse_order_21rocsparse_index_base_b,@function
_ZN9rocsparseL29bsrmmnt_small_blockdim_kernelILj64ELj32ELj2EllaaiiEEv20rocsparse_direction_T3_S2_llNS_24const_host_device_scalarIT7_EEPKT2_PKS2_PKT4_PKT5_llS5_PT6_ll16rocsparse_order_21rocsparse_index_base_b: ; @_ZN9rocsparseL29bsrmmnt_small_blockdim_kernelILj64ELj32ELj2EllaaiiEEv20rocsparse_direction_T3_S2_llNS_24const_host_device_scalarIT7_EEPKT2_PKS2_PKT4_PKT5_llS5_PT6_ll16rocsparse_order_21rocsparse_index_base_b
; %bb.0:
	s_clause 0x1
	s_load_b96 s[20:22], s[0:1], 0x80
	s_load_b64 s[4:5], s[0:1], 0x28
	s_mov_b32 s7, -1
	s_wait_kmcnt 0x0
	s_bitcmp1_b32 s22, 0
                                        ; implicit-def: $sgpr22
	s_cselect_b32 s2, -1, 0
	s_delay_alu instid0(SALU_CYCLE_1) | instskip(NEXT) | instid1(SALU_CYCLE_1)
	s_xor_b32 s6, s2, -1
	s_and_b32 vcc_lo, exec_lo, s6
	s_cbranch_vccnz .LBB91_4
; %bb.1:
	s_load_b64 s[2:3], s[0:1], 0x60
	s_and_not1_b32 vcc_lo, exec_lo, s7
	s_cbranch_vccz .LBB91_5
.LBB91_2:
	s_and_b32 vcc_lo, exec_lo, s6
	s_cbranch_vccz .LBB91_6
.LBB91_3:
	s_wait_kmcnt 0x0
	s_load_b32 s23, s[2:3], 0x0
	s_wait_xcnt 0x0
	s_cbranch_execz .LBB91_7
	s_branch .LBB91_8
.LBB91_4:
	s_load_b32 s22, s[4:5], 0x0
	s_load_b64 s[2:3], s[0:1], 0x60
	s_cbranch_execnz .LBB91_2
.LBB91_5:
	s_wait_kmcnt 0x0
	s_mov_b32 s22, s4
	s_and_b32 vcc_lo, exec_lo, s6
	s_cbranch_vccnz .LBB91_3
.LBB91_6:
	s_wait_kmcnt 0x0
                                        ; implicit-def: $sgpr23
.LBB91_7:
	s_wait_kmcnt 0x0
	s_mov_b32 s23, s2
.LBB91_8:
	s_cmp_eq_u32 s22, 0
	s_cselect_b32 s2, -1, 0
	s_wait_kmcnt 0x0
	s_cmp_eq_u32 s23, 1
	s_cselect_b32 s3, -1, 0
	s_delay_alu instid0(SALU_CYCLE_1) | instskip(NEXT) | instid1(SALU_CYCLE_1)
	s_and_b32 s2, s2, s3
	s_and_b32 vcc_lo, exec_lo, s2
	s_cbranch_vccnz .LBB91_34
; %bb.9:
	s_clause 0x1
	s_load_b32 s2, s[0:1], 0x9c
	s_load_b128 s[12:15], s[0:1], 0x8
	s_bfe_u32 s3, ttmp6, 0x4000c
	s_and_b32 s4, ttmp6, 15
	s_add_co_i32 s3, s3, 1
	s_getreg_b32 s5, hwreg(HW_REG_IB_STS2, 6, 4)
	s_mul_i32 s3, ttmp9, s3
	s_delay_alu instid0(SALU_CYCLE_1) | instskip(SKIP_4) | instid1(SALU_CYCLE_1)
	s_add_co_i32 s4, s4, s3
	s_wait_kmcnt 0x0
	s_and_b32 s2, s2, 0xffff
	s_cmp_eq_u32 s5, 0
	s_cselect_b32 s3, ttmp9, s4
	v_mad_u32 v1, s3, s2, v0
	v_mov_b32_e32 v3, 0
	s_mov_b32 s2, exec_lo
	s_delay_alu instid0(VALU_DEP_2) | instskip(NEXT) | instid1(VALU_DEP_1)
	v_lshrrev_b32_e32 v2, 6, v1
	v_cmpx_gt_i64_e64 s[12:13], v[2:3]
	s_cbranch_execz .LBB91_34
; %bb.10:
	v_cmp_lt_i64_e64 s2, s[14:15], 1
	s_and_b32 vcc_lo, exec_lo, s2
	s_cbranch_vccnz .LBB91_34
; %bb.11:
	s_load_b256 s[4:11], s[0:1], 0x30
	v_dual_mov_b32 v3, 0 :: v_dual_lshlrev_b32 v2, 3, v2
	s_clause 0x1
	s_load_b128 s[16:19], s[0:1], 0x68
	s_load_b64 s[2:3], s[0:1], 0x50
	v_bfe_u32 v6, v1, 5, 1
	s_wait_xcnt 0x0
	s_load_b32 s0, s[0:1], 0x0
	s_mov_b64 s[12:13], 0
	v_dual_lshrrev_b32 v8, 5, v0 :: v_dual_bitop2_b32 v0, 31, v0 bitop3:0x40
	s_delay_alu instid0(VALU_DEP_1) | instskip(SKIP_1) | instid1(VALU_DEP_3)
	v_dual_mov_b32 v7, v3 :: v_dual_lshlrev_b32 v22, 8, v8
	v_mul_u32_u24_e32 v8, 0x60, v8
	v_mul_u32_u24_e32 v16, 3, v0
	s_delay_alu instid0(VALU_DEP_2)
	v_or_b32_e32 v24, 0x200, v8
	s_wait_kmcnt 0x0
	global_load_b128 v[10:13], v2, s[4:5]
	s_wait_xcnt 0x0
	v_lshrrev_b32_e32 v2, 5, v1
	s_mov_b32 s5, 0
	s_mov_b32 s4, s21
	v_mov_b32_e32 v1, v3
	v_lshl_or_b32 v23, v0, 3, v22
	v_mul_u64_e32 v[4:5], s[18:19], v[2:3]
	s_cmp_eq_u32 s0, 0
	v_dual_lshlrev_b32 v2, 2, v2 :: v_dual_add_nc_u32 v25, v24, v16
	s_cselect_b32 s1, -1, 0
	s_cmp_lg_u32 s23, 0
	v_cndmask_b32_e64 v9, 0, 1, s1
	s_delay_alu instid0(VALU_DEP_2) | instskip(SKIP_2) | instid1(VALU_DEP_2)
	v_add_nc_u64_e32 v[2:3], s[16:17], v[2:3]
	s_cselect_b32 s21, -1, 0
	s_cmp_lg_u32 s20, 1
	v_lshlrev_b64_e32 v[14:15], v9, v[6:7]
	s_cselect_b32 s20, -1, 0
	s_and_b32 s1, s1, exec_lo
	v_lshl_add_u64 v[4:5], v[4:5], 2, s[16:17]
	s_wait_loadcnt 0x0
	v_sub_nc_u64_e64 v[6:7], v[10:11], s[4:5]
	v_sub_nc_u64_e64 v[8:9], v[12:13], s[4:5]
	v_cmp_lt_i64_e64 s0, v[10:11], v[12:13]
	v_add_nc_u64_e32 v[10:11], s[8:9], v[14:15]
	s_cselect_b32 s8, 1, 2
	s_mov_b32 s9, s5
	s_branch .LBB91_13
.LBB91_12:                              ;   in Loop: Header=BB91_13 Depth=1
	s_wait_xcnt 0x0
	s_or_b32 exec_lo, exec_lo, s1
	s_add_nc_u64 s[12:13], s[12:13], 32
	s_delay_alu instid0(SALU_CYCLE_1)
	v_cmp_lt_i64_e64 s1, s[12:13], s[14:15]
	s_and_b32 vcc_lo, exec_lo, s1
	s_cbranch_vccz .LBB91_34
.LBB91_13:                              ; =>This Loop Header: Depth=1
                                        ;     Child Loop BB91_16 Depth 2
                                        ;       Child Loop BB91_20 Depth 3
	v_dual_mov_b32 v13, s13 :: v_dual_bitop2_b32 v12, s12, v0 bitop3:0x54
	v_mov_b32_e32 v26, 0
	s_and_saveexec_b32 s16, s0
	s_cbranch_execz .LBB91_22
; %bb.14:                               ;   in Loop: Header=BB91_13 Depth=1
	s_delay_alu instid0(VALU_DEP_2)
	v_add_nc_u64_e32 v[14:15], s[10:11], v[12:13]
	v_mov_b64_e32 v[16:17], v[6:7]
	v_mov_b32_e32 v26, 0
	s_mov_b32 s17, 0
	v_cmp_gt_i64_e32 vcc_lo, s[14:15], v[12:13]
	s_branch .LBB91_16
.LBB91_15:                              ;   in Loop: Header=BB91_16 Depth=2
	s_wait_xcnt 0x0
	s_or_b32 exec_lo, exec_lo, s1
	v_add_nc_u64_e32 v[16:17], 32, v[16:17]
	s_delay_alu instid0(VALU_DEP_1) | instskip(SKIP_1) | instid1(SALU_CYCLE_1)
	v_cmp_ge_i64_e64 s1, v[16:17], v[8:9]
	s_or_b32 s17, s1, s17
	s_and_not1_b32 exec_lo, exec_lo, s17
	s_cbranch_execz .LBB91_21
.LBB91_16:                              ;   Parent Loop BB91_13 Depth=1
                                        ; =>  This Loop Header: Depth=2
                                        ;       Child Loop BB91_20 Depth 3
	s_delay_alu instid0(VALU_DEP_3) | instskip(SKIP_3) | instid1(VALU_DEP_3)
	v_add_nc_u64_e32 v[20:21], v[16:17], v[0:1]
	v_mov_b64_e32 v[18:19], 0
	v_dual_mov_b32 v27, 0 :: v_dual_mov_b32 v28, 0
	s_mov_b32 s24, exec_lo
	v_cmpx_lt_i64_e64 v[20:21], v[8:9]
	s_cbranch_execz .LBB91_18
; %bb.17:                               ;   in Loop: Header=BB91_16 Depth=2
	v_lshl_add_u64 v[18:19], v[20:21], 3, s[6:7]
	v_lshl_add_u64 v[20:21], v[20:21], 2, v[10:11]
	global_load_b64 v[18:19], v[18:19], off
	v_add_nc_u64_e32 v[30:31], s[8:9], v[20:21]
	s_clause 0x1
	global_load_u8 v27, v[20:21], off
	global_load_u8 v28, v[30:31], off
	s_wait_loadcnt 0x2
	s_wait_xcnt 0x2
	v_sub_nc_u64_e64 v[18:19], v[18:19], s[4:5]
	s_delay_alu instid0(VALU_DEP_1)
	v_lshlrev_b64_e32 v[18:19], 1, v[18:19]
.LBB91_18:                              ;   in Loop: Header=BB91_16 Depth=2
	s_wait_xcnt 0x0
	s_or_b32 exec_lo, exec_lo, s24
	ds_store_b64 v23, v[18:19]
	s_wait_loadcnt 0x1
	ds_store_b8 v25, v27
	s_wait_loadcnt 0x0
	ds_store_b8 v25, v28 offset:1
	s_wait_dscnt 0x0
	s_barrier_signal -1
	s_barrier_wait -1
	s_and_saveexec_b32 s1, vcc_lo
	s_cbranch_execz .LBB91_15
; %bb.19:                               ;   in Loop: Header=BB91_16 Depth=2
	v_mov_b32_e32 v18, v22
	s_mov_b32 s24, 0
.LBB91_20:                              ;   Parent Loop BB91_13 Depth=1
                                        ;     Parent Loop BB91_16 Depth=2
                                        ; =>    This Inner Loop Header: Depth=3
	s_wait_xcnt 0x0
	ds_load_b128 v[28:31], v18
	v_add_nc_u32_e32 v18, 16, v18
	s_wait_dscnt 0x0
	v_mad_nc_u64_u32 v[20:21], v28, s2, v[14:15]
	v_mad_nc_u64_u32 v[32:33], v30, s2, v[14:15]
	s_delay_alu instid0(VALU_DEP_2) | instskip(NEXT) | instid1(VALU_DEP_2)
	v_mad_u32 v19, v29, s2, v21
	v_mad_u32 v27, v31, s2, v33
	s_delay_alu instid0(VALU_DEP_2) | instskip(NEXT) | instid1(VALU_DEP_2)
	v_mad_u32 v21, v28, s3, v19
	v_mad_u32 v33, v30, s3, v27
	s_delay_alu instid0(VALU_DEP_2) | instskip(NEXT) | instid1(VALU_DEP_2)
	v_add_nc_u64_e32 v[28:29], s[2:3], v[20:21]
	v_add_nc_u64_e32 v[30:31], s[2:3], v[32:33]
	s_clause 0x3
	global_load_i8 v19, v[20:21], off
	global_load_i8 v27, v[32:33], off
	;; [unrolled: 1-line block ×4, first 2 shown]
	s_wait_loadcnt 0x1
	v_perm_b32 v19, v34, v19, 0xc0c0400
	s_wait_loadcnt 0x0
	v_perm_b32 v27, v35, v27, 0x4000c0c
	s_wait_xcnt 0x3
	v_add_nc_u32_e32 v20, s24, v24
	s_add_co_i32 s24, s24, 6
	s_delay_alu instid0(SALU_CYCLE_1)
	s_cmp_lg_u32 s24, 0x60
	v_or_b32_e32 v19, v27, v19
	ds_load_u16 v21, v20
	s_wait_xcnt 0x1
	ds_load_i8 v28, v20 offset:3
	ds_load_i8 v20, v20 offset:4
	s_wait_dscnt 0x2
	v_perm_b32 v21, v21, v21, 0xc0c0100
	s_wait_dscnt 0x0
	v_perm_b32 v20, v20, v28, 0x4000c0c
	s_delay_alu instid0(VALU_DEP_1) | instskip(NEXT) | instid1(VALU_DEP_1)
	v_or_b32_e32 v20, v20, v21
	v_dot4_i32_iu8 v26, v20, v19, v26 neg_lo:[1,1,0]
	s_cbranch_scc1 .LBB91_20
	s_branch .LBB91_15
.LBB91_21:                              ;   in Loop: Header=BB91_13 Depth=1
	s_or_b32 exec_lo, exec_lo, s17
.LBB91_22:                              ;   in Loop: Header=BB91_13 Depth=1
	s_delay_alu instid0(SALU_CYCLE_1) | instskip(NEXT) | instid1(SALU_CYCLE_1)
	s_or_b32 exec_lo, exec_lo, s16
	s_mov_b32 s1, exec_lo
	v_cmpx_gt_i64_e64 s[14:15], v[12:13]
	s_cbranch_execz .LBB91_12
; %bb.23:                               ;   in Loop: Header=BB91_13 Depth=1
	s_and_b32 vcc_lo, exec_lo, s21
	s_cbranch_vccz .LBB91_29
; %bb.24:                               ;   in Loop: Header=BB91_13 Depth=1
	s_and_b32 vcc_lo, exec_lo, s20
	s_mov_b32 s16, -1
	s_cbranch_vccz .LBB91_26
; %bb.25:                               ;   in Loop: Header=BB91_13 Depth=1
	v_lshl_add_u64 v[14:15], v[12:13], 2, v[4:5]
	v_mul_lo_u32 v17, v26, s22
	s_mov_b32 s16, 0
	global_load_b32 v16, v[14:15], off
	s_wait_loadcnt 0x0
	v_mad_u32 v16, v16, s23, v17
	global_store_b32 v[14:15], v16, off
.LBB91_26:                              ;   in Loop: Header=BB91_13 Depth=1
	s_and_not1_b32 vcc_lo, exec_lo, s16
	s_cbranch_vccnz .LBB91_28
; %bb.27:                               ;   in Loop: Header=BB91_13 Depth=1
	s_wait_xcnt 0x0
	v_mul_u64_e32 v[14:15], s[18:19], v[12:13]
	v_mul_lo_u32 v17, v26, s22
	s_delay_alu instid0(VALU_DEP_2)
	v_lshl_add_u64 v[14:15], v[14:15], 2, v[2:3]
	global_load_b32 v16, v[14:15], off
	s_wait_loadcnt 0x0
	v_mad_u32 v16, v16, s23, v17
	global_store_b32 v[14:15], v16, off
.LBB91_28:                              ;   in Loop: Header=BB91_13 Depth=1
	s_cbranch_execnz .LBB91_12
	s_branch .LBB91_30
.LBB91_29:                              ;   in Loop: Header=BB91_13 Depth=1
.LBB91_30:                              ;   in Loop: Header=BB91_13 Depth=1
	s_wait_xcnt 0x0
	v_mul_lo_u32 v14, v26, s22
	s_and_b32 vcc_lo, exec_lo, s20
	s_mov_b32 s16, -1
	s_cbranch_vccz .LBB91_32
; %bb.31:                               ;   in Loop: Header=BB91_13 Depth=1
	v_lshl_add_u64 v[16:17], v[12:13], 2, v[4:5]
	s_mov_b32 s16, 0
	global_store_b32 v[16:17], v14, off
.LBB91_32:                              ;   in Loop: Header=BB91_13 Depth=1
	s_and_not1_b32 vcc_lo, exec_lo, s16
	s_cbranch_vccnz .LBB91_12
; %bb.33:                               ;   in Loop: Header=BB91_13 Depth=1
	v_mul_u64_e32 v[12:13], s[18:19], v[12:13]
	s_delay_alu instid0(VALU_DEP_1)
	v_lshl_add_u64 v[12:13], v[12:13], 2, v[2:3]
	global_store_b32 v[12:13], v14, off
	s_branch .LBB91_12
.LBB91_34:
	s_endpgm
	.section	.rodata,"a",@progbits
	.p2align	6, 0x0
	.amdhsa_kernel _ZN9rocsparseL29bsrmmnt_small_blockdim_kernelILj64ELj32ELj2EllaaiiEEv20rocsparse_direction_T3_S2_llNS_24const_host_device_scalarIT7_EEPKT2_PKS2_PKT4_PKT5_llS5_PT6_ll16rocsparse_order_21rocsparse_index_base_b
		.amdhsa_group_segment_fixed_size 704
		.amdhsa_private_segment_fixed_size 0
		.amdhsa_kernarg_size 400
		.amdhsa_user_sgpr_count 2
		.amdhsa_user_sgpr_dispatch_ptr 0
		.amdhsa_user_sgpr_queue_ptr 0
		.amdhsa_user_sgpr_kernarg_segment_ptr 1
		.amdhsa_user_sgpr_dispatch_id 0
		.amdhsa_user_sgpr_kernarg_preload_length 0
		.amdhsa_user_sgpr_kernarg_preload_offset 0
		.amdhsa_user_sgpr_private_segment_size 0
		.amdhsa_wavefront_size32 1
		.amdhsa_uses_dynamic_stack 0
		.amdhsa_enable_private_segment 0
		.amdhsa_system_sgpr_workgroup_id_x 1
		.amdhsa_system_sgpr_workgroup_id_y 0
		.amdhsa_system_sgpr_workgroup_id_z 0
		.amdhsa_system_sgpr_workgroup_info 0
		.amdhsa_system_vgpr_workitem_id 0
		.amdhsa_next_free_vgpr 36
		.amdhsa_next_free_sgpr 25
		.amdhsa_named_barrier_count 0
		.amdhsa_reserve_vcc 1
		.amdhsa_float_round_mode_32 0
		.amdhsa_float_round_mode_16_64 0
		.amdhsa_float_denorm_mode_32 3
		.amdhsa_float_denorm_mode_16_64 3
		.amdhsa_fp16_overflow 0
		.amdhsa_memory_ordered 1
		.amdhsa_forward_progress 1
		.amdhsa_inst_pref_size 12
		.amdhsa_round_robin_scheduling 0
		.amdhsa_exception_fp_ieee_invalid_op 0
		.amdhsa_exception_fp_denorm_src 0
		.amdhsa_exception_fp_ieee_div_zero 0
		.amdhsa_exception_fp_ieee_overflow 0
		.amdhsa_exception_fp_ieee_underflow 0
		.amdhsa_exception_fp_ieee_inexact 0
		.amdhsa_exception_int_div_zero 0
	.end_amdhsa_kernel
	.section	.text._ZN9rocsparseL29bsrmmnt_small_blockdim_kernelILj64ELj32ELj2EllaaiiEEv20rocsparse_direction_T3_S2_llNS_24const_host_device_scalarIT7_EEPKT2_PKS2_PKT4_PKT5_llS5_PT6_ll16rocsparse_order_21rocsparse_index_base_b,"axG",@progbits,_ZN9rocsparseL29bsrmmnt_small_blockdim_kernelILj64ELj32ELj2EllaaiiEEv20rocsparse_direction_T3_S2_llNS_24const_host_device_scalarIT7_EEPKT2_PKS2_PKT4_PKT5_llS5_PT6_ll16rocsparse_order_21rocsparse_index_base_b,comdat
.Lfunc_end91:
	.size	_ZN9rocsparseL29bsrmmnt_small_blockdim_kernelILj64ELj32ELj2EllaaiiEEv20rocsparse_direction_T3_S2_llNS_24const_host_device_scalarIT7_EEPKT2_PKS2_PKT4_PKT5_llS5_PT6_ll16rocsparse_order_21rocsparse_index_base_b, .Lfunc_end91-_ZN9rocsparseL29bsrmmnt_small_blockdim_kernelILj64ELj32ELj2EllaaiiEEv20rocsparse_direction_T3_S2_llNS_24const_host_device_scalarIT7_EEPKT2_PKS2_PKT4_PKT5_llS5_PT6_ll16rocsparse_order_21rocsparse_index_base_b
                                        ; -- End function
	.set _ZN9rocsparseL29bsrmmnt_small_blockdim_kernelILj64ELj32ELj2EllaaiiEEv20rocsparse_direction_T3_S2_llNS_24const_host_device_scalarIT7_EEPKT2_PKS2_PKT4_PKT5_llS5_PT6_ll16rocsparse_order_21rocsparse_index_base_b.num_vgpr, 36
	.set _ZN9rocsparseL29bsrmmnt_small_blockdim_kernelILj64ELj32ELj2EllaaiiEEv20rocsparse_direction_T3_S2_llNS_24const_host_device_scalarIT7_EEPKT2_PKS2_PKT4_PKT5_llS5_PT6_ll16rocsparse_order_21rocsparse_index_base_b.num_agpr, 0
	.set _ZN9rocsparseL29bsrmmnt_small_blockdim_kernelILj64ELj32ELj2EllaaiiEEv20rocsparse_direction_T3_S2_llNS_24const_host_device_scalarIT7_EEPKT2_PKS2_PKT4_PKT5_llS5_PT6_ll16rocsparse_order_21rocsparse_index_base_b.numbered_sgpr, 25
	.set _ZN9rocsparseL29bsrmmnt_small_blockdim_kernelILj64ELj32ELj2EllaaiiEEv20rocsparse_direction_T3_S2_llNS_24const_host_device_scalarIT7_EEPKT2_PKS2_PKT4_PKT5_llS5_PT6_ll16rocsparse_order_21rocsparse_index_base_b.num_named_barrier, 0
	.set _ZN9rocsparseL29bsrmmnt_small_blockdim_kernelILj64ELj32ELj2EllaaiiEEv20rocsparse_direction_T3_S2_llNS_24const_host_device_scalarIT7_EEPKT2_PKS2_PKT4_PKT5_llS5_PT6_ll16rocsparse_order_21rocsparse_index_base_b.private_seg_size, 0
	.set _ZN9rocsparseL29bsrmmnt_small_blockdim_kernelILj64ELj32ELj2EllaaiiEEv20rocsparse_direction_T3_S2_llNS_24const_host_device_scalarIT7_EEPKT2_PKS2_PKT4_PKT5_llS5_PT6_ll16rocsparse_order_21rocsparse_index_base_b.uses_vcc, 1
	.set _ZN9rocsparseL29bsrmmnt_small_blockdim_kernelILj64ELj32ELj2EllaaiiEEv20rocsparse_direction_T3_S2_llNS_24const_host_device_scalarIT7_EEPKT2_PKS2_PKT4_PKT5_llS5_PT6_ll16rocsparse_order_21rocsparse_index_base_b.uses_flat_scratch, 0
	.set _ZN9rocsparseL29bsrmmnt_small_blockdim_kernelILj64ELj32ELj2EllaaiiEEv20rocsparse_direction_T3_S2_llNS_24const_host_device_scalarIT7_EEPKT2_PKS2_PKT4_PKT5_llS5_PT6_ll16rocsparse_order_21rocsparse_index_base_b.has_dyn_sized_stack, 0
	.set _ZN9rocsparseL29bsrmmnt_small_blockdim_kernelILj64ELj32ELj2EllaaiiEEv20rocsparse_direction_T3_S2_llNS_24const_host_device_scalarIT7_EEPKT2_PKS2_PKT4_PKT5_llS5_PT6_ll16rocsparse_order_21rocsparse_index_base_b.has_recursion, 0
	.set _ZN9rocsparseL29bsrmmnt_small_blockdim_kernelILj64ELj32ELj2EllaaiiEEv20rocsparse_direction_T3_S2_llNS_24const_host_device_scalarIT7_EEPKT2_PKS2_PKT4_PKT5_llS5_PT6_ll16rocsparse_order_21rocsparse_index_base_b.has_indirect_call, 0
	.section	.AMDGPU.csdata,"",@progbits
; Kernel info:
; codeLenInByte = 1444
; TotalNumSgprs: 27
; NumVgprs: 36
; ScratchSize: 0
; MemoryBound: 0
; FloatMode: 240
; IeeeMode: 1
; LDSByteSize: 704 bytes/workgroup (compile time only)
; SGPRBlocks: 0
; VGPRBlocks: 2
; NumSGPRsForWavesPerEU: 27
; NumVGPRsForWavesPerEU: 36
; NamedBarCnt: 0
; Occupancy: 16
; WaveLimiterHint : 1
; COMPUTE_PGM_RSRC2:SCRATCH_EN: 0
; COMPUTE_PGM_RSRC2:USER_SGPR: 2
; COMPUTE_PGM_RSRC2:TRAP_HANDLER: 0
; COMPUTE_PGM_RSRC2:TGID_X_EN: 1
; COMPUTE_PGM_RSRC2:TGID_Y_EN: 0
; COMPUTE_PGM_RSRC2:TGID_Z_EN: 0
; COMPUTE_PGM_RSRC2:TIDIG_COMP_CNT: 0
	.section	.text._ZN9rocsparseL29bsrmmnt_small_blockdim_kernelILj64ELj64ELj2EllaaiiEEv20rocsparse_direction_T3_S2_llNS_24const_host_device_scalarIT7_EEPKT2_PKS2_PKT4_PKT5_llS5_PT6_ll16rocsparse_order_21rocsparse_index_base_b,"axG",@progbits,_ZN9rocsparseL29bsrmmnt_small_blockdim_kernelILj64ELj64ELj2EllaaiiEEv20rocsparse_direction_T3_S2_llNS_24const_host_device_scalarIT7_EEPKT2_PKS2_PKT4_PKT5_llS5_PT6_ll16rocsparse_order_21rocsparse_index_base_b,comdat
	.globl	_ZN9rocsparseL29bsrmmnt_small_blockdim_kernelILj64ELj64ELj2EllaaiiEEv20rocsparse_direction_T3_S2_llNS_24const_host_device_scalarIT7_EEPKT2_PKS2_PKT4_PKT5_llS5_PT6_ll16rocsparse_order_21rocsparse_index_base_b ; -- Begin function _ZN9rocsparseL29bsrmmnt_small_blockdim_kernelILj64ELj64ELj2EllaaiiEEv20rocsparse_direction_T3_S2_llNS_24const_host_device_scalarIT7_EEPKT2_PKS2_PKT4_PKT5_llS5_PT6_ll16rocsparse_order_21rocsparse_index_base_b
	.p2align	8
	.type	_ZN9rocsparseL29bsrmmnt_small_blockdim_kernelILj64ELj64ELj2EllaaiiEEv20rocsparse_direction_T3_S2_llNS_24const_host_device_scalarIT7_EEPKT2_PKS2_PKT4_PKT5_llS5_PT6_ll16rocsparse_order_21rocsparse_index_base_b,@function
_ZN9rocsparseL29bsrmmnt_small_blockdim_kernelILj64ELj64ELj2EllaaiiEEv20rocsparse_direction_T3_S2_llNS_24const_host_device_scalarIT7_EEPKT2_PKS2_PKT4_PKT5_llS5_PT6_ll16rocsparse_order_21rocsparse_index_base_b: ; @_ZN9rocsparseL29bsrmmnt_small_blockdim_kernelILj64ELj64ELj2EllaaiiEEv20rocsparse_direction_T3_S2_llNS_24const_host_device_scalarIT7_EEPKT2_PKS2_PKT4_PKT5_llS5_PT6_ll16rocsparse_order_21rocsparse_index_base_b
; %bb.0:
	s_clause 0x1
	s_load_b96 s[20:22], s[0:1], 0x80
	s_load_b64 s[4:5], s[0:1], 0x28
	s_mov_b32 s7, -1
	s_wait_kmcnt 0x0
	s_bitcmp1_b32 s22, 0
                                        ; implicit-def: $sgpr22
	s_cselect_b32 s2, -1, 0
	s_delay_alu instid0(SALU_CYCLE_1) | instskip(NEXT) | instid1(SALU_CYCLE_1)
	s_xor_b32 s6, s2, -1
	s_and_b32 vcc_lo, exec_lo, s6
	s_cbranch_vccnz .LBB92_4
; %bb.1:
	s_load_b64 s[2:3], s[0:1], 0x60
	s_and_not1_b32 vcc_lo, exec_lo, s7
	s_cbranch_vccz .LBB92_5
.LBB92_2:
	s_and_b32 vcc_lo, exec_lo, s6
	s_cbranch_vccz .LBB92_6
.LBB92_3:
	s_wait_kmcnt 0x0
	s_load_b32 s23, s[2:3], 0x0
	s_wait_xcnt 0x0
	s_cbranch_execz .LBB92_7
	s_branch .LBB92_8
.LBB92_4:
	s_load_b32 s22, s[4:5], 0x0
	s_load_b64 s[2:3], s[0:1], 0x60
	s_cbranch_execnz .LBB92_2
.LBB92_5:
	s_wait_kmcnt 0x0
	s_mov_b32 s22, s4
	s_and_b32 vcc_lo, exec_lo, s6
	s_cbranch_vccnz .LBB92_3
.LBB92_6:
	s_wait_kmcnt 0x0
                                        ; implicit-def: $sgpr23
.LBB92_7:
	s_wait_kmcnt 0x0
	s_mov_b32 s23, s2
.LBB92_8:
	s_cmp_eq_u32 s22, 0
	s_cselect_b32 s2, -1, 0
	s_wait_kmcnt 0x0
	s_cmp_eq_u32 s23, 1
	s_cselect_b32 s3, -1, 0
	s_delay_alu instid0(SALU_CYCLE_1) | instskip(NEXT) | instid1(SALU_CYCLE_1)
	s_and_b32 s2, s2, s3
	s_and_b32 vcc_lo, exec_lo, s2
	s_cbranch_vccnz .LBB92_34
; %bb.9:
	s_clause 0x1
	s_load_b32 s2, s[0:1], 0x9c
	s_load_b128 s[12:15], s[0:1], 0x8
	s_bfe_u32 s3, ttmp6, 0x4000c
	s_and_b32 s4, ttmp6, 15
	s_add_co_i32 s3, s3, 1
	s_getreg_b32 s5, hwreg(HW_REG_IB_STS2, 6, 4)
	s_mul_i32 s3, ttmp9, s3
	s_delay_alu instid0(SALU_CYCLE_1) | instskip(SKIP_4) | instid1(SALU_CYCLE_1)
	s_add_co_i32 s4, s4, s3
	s_wait_kmcnt 0x0
	s_and_b32 s2, s2, 0xffff
	s_cmp_eq_u32 s5, 0
	s_cselect_b32 s3, ttmp9, s4
	v_mad_u32 v1, s3, s2, v0
	v_mov_b32_e32 v3, 0
	s_mov_b32 s2, exec_lo
	s_delay_alu instid0(VALU_DEP_2) | instskip(NEXT) | instid1(VALU_DEP_1)
	v_lshrrev_b32_e32 v2, 7, v1
	v_cmpx_gt_i64_e64 s[12:13], v[2:3]
	s_cbranch_execz .LBB92_34
; %bb.10:
	v_cmp_lt_i64_e64 s2, s[14:15], 1
	s_and_b32 vcc_lo, exec_lo, s2
	s_cbranch_vccnz .LBB92_34
; %bb.11:
	s_load_b256 s[4:11], s[0:1], 0x30
	v_dual_mov_b32 v3, 0 :: v_dual_lshlrev_b32 v2, 3, v2
	s_clause 0x1
	s_load_b128 s[16:19], s[0:1], 0x68
	s_load_b64 s[2:3], s[0:1], 0x50
	v_bfe_u32 v6, v1, 6, 1
	s_wait_xcnt 0x0
	s_load_b32 s0, s[0:1], 0x0
	v_mul_u32_u24_e32 v16, 3, v0
	s_mov_b64 s[12:13], 0
	v_lshlrev_b32_e32 v22, 3, v0
	s_delay_alu instid0(VALU_DEP_2)
	v_add_nc_u32_e32 v23, 0x200, v16
	s_wait_kmcnt 0x0
	global_load_b128 v[10:13], v2, s[4:5]
	s_wait_xcnt 0x0
	v_dual_mov_b32 v7, v3 :: v_dual_lshrrev_b32 v2, 6, v1
	s_mov_b32 s5, 0
	s_mov_b32 s4, s21
	v_mov_b32_e32 v1, v3
	s_delay_alu instid0(VALU_DEP_2)
	v_mul_u64_e32 v[4:5], s[18:19], v[2:3]
	s_cmp_eq_u32 s0, 0
	v_lshlrev_b32_e32 v2, 2, v2
	s_cselect_b32 s1, -1, 0
	s_cmp_lg_u32 s23, 0
	v_cndmask_b32_e64 v8, 0, 1, s1
	s_cselect_b32 s21, -1, 0
	v_add_nc_u64_e32 v[2:3], s[16:17], v[2:3]
	s_cmp_lg_u32 s20, 1
	s_delay_alu instid0(VALU_DEP_2)
	v_lshlrev_b64_e32 v[14:15], v8, v[6:7]
	s_cselect_b32 s20, -1, 0
	s_and_b32 s1, s1, exec_lo
	v_lshl_add_u64 v[4:5], v[4:5], 2, s[16:17]
	s_wait_loadcnt 0x0
	v_sub_nc_u64_e64 v[6:7], v[10:11], s[4:5]
	v_sub_nc_u64_e64 v[8:9], v[12:13], s[4:5]
	v_cmp_lt_i64_e64 s0, v[10:11], v[12:13]
	v_add_nc_u64_e32 v[10:11], s[8:9], v[14:15]
	s_cselect_b32 s8, 1, 2
	s_mov_b32 s9, s5
	s_branch .LBB92_13
.LBB92_12:                              ;   in Loop: Header=BB92_13 Depth=1
	s_wait_xcnt 0x0
	s_or_b32 exec_lo, exec_lo, s1
	s_add_nc_u64 s[12:13], s[12:13], 64
	s_delay_alu instid0(SALU_CYCLE_1)
	v_cmp_lt_i64_e64 s1, s[12:13], s[14:15]
	s_and_b32 vcc_lo, exec_lo, s1
	s_cbranch_vccz .LBB92_34
.LBB92_13:                              ; =>This Loop Header: Depth=1
                                        ;     Child Loop BB92_16 Depth 2
                                        ;       Child Loop BB92_20 Depth 3
	v_dual_mov_b32 v13, s13 :: v_dual_bitop2_b32 v12, s12, v0 bitop3:0x54
	v_mov_b32_e32 v24, 0
	s_and_saveexec_b32 s16, s0
	s_cbranch_execz .LBB92_22
; %bb.14:                               ;   in Loop: Header=BB92_13 Depth=1
	s_delay_alu instid0(VALU_DEP_2)
	v_add_nc_u64_e32 v[14:15], s[10:11], v[12:13]
	v_mov_b64_e32 v[16:17], v[6:7]
	v_mov_b32_e32 v24, 0
	s_mov_b32 s17, 0
	v_cmp_gt_i64_e32 vcc_lo, s[14:15], v[12:13]
	s_branch .LBB92_16
.LBB92_15:                              ;   in Loop: Header=BB92_16 Depth=2
	s_wait_xcnt 0x0
	s_or_b32 exec_lo, exec_lo, s1
	v_add_nc_u64_e32 v[16:17], 64, v[16:17]
	s_delay_alu instid0(VALU_DEP_1) | instskip(SKIP_1) | instid1(SALU_CYCLE_1)
	v_cmp_ge_i64_e64 s1, v[16:17], v[8:9]
	s_or_b32 s17, s1, s17
	s_and_not1_b32 exec_lo, exec_lo, s17
	s_cbranch_execz .LBB92_21
.LBB92_16:                              ;   Parent Loop BB92_13 Depth=1
                                        ; =>  This Loop Header: Depth=2
                                        ;       Child Loop BB92_20 Depth 3
	s_delay_alu instid0(VALU_DEP_3) | instskip(SKIP_3) | instid1(VALU_DEP_3)
	v_add_nc_u64_e32 v[20:21], v[16:17], v[0:1]
	v_mov_b64_e32 v[18:19], 0
	v_dual_mov_b32 v25, 0 :: v_dual_mov_b32 v26, 0
	s_mov_b32 s24, exec_lo
	v_cmpx_lt_i64_e64 v[20:21], v[8:9]
	s_cbranch_execz .LBB92_18
; %bb.17:                               ;   in Loop: Header=BB92_16 Depth=2
	v_lshl_add_u64 v[18:19], v[20:21], 3, s[6:7]
	v_lshl_add_u64 v[20:21], v[20:21], 2, v[10:11]
	global_load_b64 v[18:19], v[18:19], off
	v_add_nc_u64_e32 v[28:29], s[8:9], v[20:21]
	s_clause 0x1
	global_load_u8 v25, v[20:21], off
	global_load_u8 v26, v[28:29], off
	s_wait_loadcnt 0x2
	s_wait_xcnt 0x2
	v_sub_nc_u64_e64 v[18:19], v[18:19], s[4:5]
	s_delay_alu instid0(VALU_DEP_1)
	v_lshlrev_b64_e32 v[18:19], 1, v[18:19]
.LBB92_18:                              ;   in Loop: Header=BB92_16 Depth=2
	s_wait_xcnt 0x0
	s_or_b32 exec_lo, exec_lo, s24
	ds_store_b64 v22, v[18:19]
	s_wait_loadcnt 0x1
	ds_store_b8 v23, v25
	s_wait_loadcnt 0x0
	ds_store_b8 v23, v26 offset:1
	s_wait_dscnt 0x0
	s_barrier_signal -1
	s_barrier_wait -1
	s_and_saveexec_b32 s1, vcc_lo
	s_cbranch_execz .LBB92_15
; %bb.19:                               ;   in Loop: Header=BB92_16 Depth=2
	v_mov_b32_e32 v18, 0
	s_mov_b32 s24, 0
.LBB92_20:                              ;   Parent Loop BB92_13 Depth=1
                                        ;     Parent Loop BB92_16 Depth=2
                                        ; =>    This Inner Loop Header: Depth=3
	s_wait_xcnt 0x0
	ds_load_b128 v[26:29], v18
	v_add_nc_u32_e32 v18, 16, v18
	s_wait_dscnt 0x0
	v_mad_nc_u64_u32 v[20:21], v26, s2, v[14:15]
	v_mad_nc_u64_u32 v[30:31], v28, s2, v[14:15]
	s_delay_alu instid0(VALU_DEP_2) | instskip(NEXT) | instid1(VALU_DEP_2)
	v_mad_u32 v19, v27, s2, v21
	v_mad_u32 v25, v29, s2, v31
	s_delay_alu instid0(VALU_DEP_2) | instskip(NEXT) | instid1(VALU_DEP_2)
	v_mad_u32 v21, v26, s3, v19
	v_mad_u32 v31, v28, s3, v25
	s_delay_alu instid0(VALU_DEP_2) | instskip(NEXT) | instid1(VALU_DEP_2)
	v_add_nc_u64_e32 v[26:27], s[2:3], v[20:21]
	v_add_nc_u64_e32 v[28:29], s[2:3], v[30:31]
	s_clause 0x3
	global_load_i8 v19, v[20:21], off
	global_load_i8 v25, v[30:31], off
	;; [unrolled: 1-line block ×4, first 2 shown]
	s_wait_xcnt 0x3
	v_add_nc_u32_e64 v20, 0x200, s24
	ds_load_u16 v21, v20
	s_wait_xcnt 0x1
	ds_load_i8 v26, v20 offset:3
	ds_load_i8 v20, v20 offset:4
	s_add_co_i32 s24, s24, 6
	s_delay_alu instid0(SALU_CYCLE_1) | instskip(SKIP_4) | instid1(VALU_DEP_1)
	s_cmp_lg_u32 s24, 0xc0
	s_wait_dscnt 0x2
	v_perm_b32 v21, v21, v21, 0xc0c0100
	s_wait_dscnt 0x0
	v_perm_b32 v20, v20, v26, 0x4000c0c
	v_or_b32_e32 v20, v20, v21
	s_wait_loadcnt 0x1
	v_perm_b32 v19, v32, v19, 0xc0c0400
	s_wait_loadcnt 0x0
	v_perm_b32 v25, v33, v25, 0x4000c0c
	s_delay_alu instid0(VALU_DEP_1) | instskip(NEXT) | instid1(VALU_DEP_1)
	v_or_b32_e32 v19, v25, v19
	v_dot4_i32_iu8 v24, v20, v19, v24 neg_lo:[1,1,0]
	s_cbranch_scc1 .LBB92_20
	s_branch .LBB92_15
.LBB92_21:                              ;   in Loop: Header=BB92_13 Depth=1
	s_or_b32 exec_lo, exec_lo, s17
.LBB92_22:                              ;   in Loop: Header=BB92_13 Depth=1
	s_delay_alu instid0(SALU_CYCLE_1) | instskip(NEXT) | instid1(SALU_CYCLE_1)
	s_or_b32 exec_lo, exec_lo, s16
	s_mov_b32 s1, exec_lo
	v_cmpx_gt_i64_e64 s[14:15], v[12:13]
	s_cbranch_execz .LBB92_12
; %bb.23:                               ;   in Loop: Header=BB92_13 Depth=1
	s_and_b32 vcc_lo, exec_lo, s21
	s_cbranch_vccz .LBB92_29
; %bb.24:                               ;   in Loop: Header=BB92_13 Depth=1
	s_and_b32 vcc_lo, exec_lo, s20
	s_mov_b32 s16, -1
	s_cbranch_vccz .LBB92_26
; %bb.25:                               ;   in Loop: Header=BB92_13 Depth=1
	v_lshl_add_u64 v[14:15], v[12:13], 2, v[4:5]
	v_mul_lo_u32 v17, v24, s22
	s_mov_b32 s16, 0
	global_load_b32 v16, v[14:15], off
	s_wait_loadcnt 0x0
	v_mad_u32 v16, v16, s23, v17
	global_store_b32 v[14:15], v16, off
.LBB92_26:                              ;   in Loop: Header=BB92_13 Depth=1
	s_and_not1_b32 vcc_lo, exec_lo, s16
	s_cbranch_vccnz .LBB92_28
; %bb.27:                               ;   in Loop: Header=BB92_13 Depth=1
	s_wait_xcnt 0x0
	v_mul_u64_e32 v[14:15], s[18:19], v[12:13]
	v_mul_lo_u32 v17, v24, s22
	s_delay_alu instid0(VALU_DEP_2)
	v_lshl_add_u64 v[14:15], v[14:15], 2, v[2:3]
	global_load_b32 v16, v[14:15], off
	s_wait_loadcnt 0x0
	v_mad_u32 v16, v16, s23, v17
	global_store_b32 v[14:15], v16, off
.LBB92_28:                              ;   in Loop: Header=BB92_13 Depth=1
	s_cbranch_execnz .LBB92_12
	s_branch .LBB92_30
.LBB92_29:                              ;   in Loop: Header=BB92_13 Depth=1
.LBB92_30:                              ;   in Loop: Header=BB92_13 Depth=1
	s_wait_xcnt 0x0
	v_mul_lo_u32 v14, v24, s22
	s_and_b32 vcc_lo, exec_lo, s20
	s_mov_b32 s16, -1
	s_cbranch_vccz .LBB92_32
; %bb.31:                               ;   in Loop: Header=BB92_13 Depth=1
	v_lshl_add_u64 v[16:17], v[12:13], 2, v[4:5]
	s_mov_b32 s16, 0
	global_store_b32 v[16:17], v14, off
.LBB92_32:                              ;   in Loop: Header=BB92_13 Depth=1
	s_and_not1_b32 vcc_lo, exec_lo, s16
	s_cbranch_vccnz .LBB92_12
; %bb.33:                               ;   in Loop: Header=BB92_13 Depth=1
	v_mul_u64_e32 v[12:13], s[18:19], v[12:13]
	s_delay_alu instid0(VALU_DEP_1)
	v_lshl_add_u64 v[12:13], v[12:13], 2, v[2:3]
	global_store_b32 v[12:13], v14, off
	s_branch .LBB92_12
.LBB92_34:
	s_endpgm
	.section	.rodata,"a",@progbits
	.p2align	6, 0x0
	.amdhsa_kernel _ZN9rocsparseL29bsrmmnt_small_blockdim_kernelILj64ELj64ELj2EllaaiiEEv20rocsparse_direction_T3_S2_llNS_24const_host_device_scalarIT7_EEPKT2_PKS2_PKT4_PKT5_llS5_PT6_ll16rocsparse_order_21rocsparse_index_base_b
		.amdhsa_group_segment_fixed_size 704
		.amdhsa_private_segment_fixed_size 0
		.amdhsa_kernarg_size 400
		.amdhsa_user_sgpr_count 2
		.amdhsa_user_sgpr_dispatch_ptr 0
		.amdhsa_user_sgpr_queue_ptr 0
		.amdhsa_user_sgpr_kernarg_segment_ptr 1
		.amdhsa_user_sgpr_dispatch_id 0
		.amdhsa_user_sgpr_kernarg_preload_length 0
		.amdhsa_user_sgpr_kernarg_preload_offset 0
		.amdhsa_user_sgpr_private_segment_size 0
		.amdhsa_wavefront_size32 1
		.amdhsa_uses_dynamic_stack 0
		.amdhsa_enable_private_segment 0
		.amdhsa_system_sgpr_workgroup_id_x 1
		.amdhsa_system_sgpr_workgroup_id_y 0
		.amdhsa_system_sgpr_workgroup_id_z 0
		.amdhsa_system_sgpr_workgroup_info 0
		.amdhsa_system_vgpr_workitem_id 0
		.amdhsa_next_free_vgpr 34
		.amdhsa_next_free_sgpr 25
		.amdhsa_named_barrier_count 0
		.amdhsa_reserve_vcc 1
		.amdhsa_float_round_mode_32 0
		.amdhsa_float_round_mode_16_64 0
		.amdhsa_float_denorm_mode_32 3
		.amdhsa_float_denorm_mode_16_64 3
		.amdhsa_fp16_overflow 0
		.amdhsa_memory_ordered 1
		.amdhsa_forward_progress 1
		.amdhsa_inst_pref_size 12
		.amdhsa_round_robin_scheduling 0
		.amdhsa_exception_fp_ieee_invalid_op 0
		.amdhsa_exception_fp_denorm_src 0
		.amdhsa_exception_fp_ieee_div_zero 0
		.amdhsa_exception_fp_ieee_overflow 0
		.amdhsa_exception_fp_ieee_underflow 0
		.amdhsa_exception_fp_ieee_inexact 0
		.amdhsa_exception_int_div_zero 0
	.end_amdhsa_kernel
	.section	.text._ZN9rocsparseL29bsrmmnt_small_blockdim_kernelILj64ELj64ELj2EllaaiiEEv20rocsparse_direction_T3_S2_llNS_24const_host_device_scalarIT7_EEPKT2_PKS2_PKT4_PKT5_llS5_PT6_ll16rocsparse_order_21rocsparse_index_base_b,"axG",@progbits,_ZN9rocsparseL29bsrmmnt_small_blockdim_kernelILj64ELj64ELj2EllaaiiEEv20rocsparse_direction_T3_S2_llNS_24const_host_device_scalarIT7_EEPKT2_PKS2_PKT4_PKT5_llS5_PT6_ll16rocsparse_order_21rocsparse_index_base_b,comdat
.Lfunc_end92:
	.size	_ZN9rocsparseL29bsrmmnt_small_blockdim_kernelILj64ELj64ELj2EllaaiiEEv20rocsparse_direction_T3_S2_llNS_24const_host_device_scalarIT7_EEPKT2_PKS2_PKT4_PKT5_llS5_PT6_ll16rocsparse_order_21rocsparse_index_base_b, .Lfunc_end92-_ZN9rocsparseL29bsrmmnt_small_blockdim_kernelILj64ELj64ELj2EllaaiiEEv20rocsparse_direction_T3_S2_llNS_24const_host_device_scalarIT7_EEPKT2_PKS2_PKT4_PKT5_llS5_PT6_ll16rocsparse_order_21rocsparse_index_base_b
                                        ; -- End function
	.set _ZN9rocsparseL29bsrmmnt_small_blockdim_kernelILj64ELj64ELj2EllaaiiEEv20rocsparse_direction_T3_S2_llNS_24const_host_device_scalarIT7_EEPKT2_PKS2_PKT4_PKT5_llS5_PT6_ll16rocsparse_order_21rocsparse_index_base_b.num_vgpr, 34
	.set _ZN9rocsparseL29bsrmmnt_small_blockdim_kernelILj64ELj64ELj2EllaaiiEEv20rocsparse_direction_T3_S2_llNS_24const_host_device_scalarIT7_EEPKT2_PKS2_PKT4_PKT5_llS5_PT6_ll16rocsparse_order_21rocsparse_index_base_b.num_agpr, 0
	.set _ZN9rocsparseL29bsrmmnt_small_blockdim_kernelILj64ELj64ELj2EllaaiiEEv20rocsparse_direction_T3_S2_llNS_24const_host_device_scalarIT7_EEPKT2_PKS2_PKT4_PKT5_llS5_PT6_ll16rocsparse_order_21rocsparse_index_base_b.numbered_sgpr, 25
	.set _ZN9rocsparseL29bsrmmnt_small_blockdim_kernelILj64ELj64ELj2EllaaiiEEv20rocsparse_direction_T3_S2_llNS_24const_host_device_scalarIT7_EEPKT2_PKS2_PKT4_PKT5_llS5_PT6_ll16rocsparse_order_21rocsparse_index_base_b.num_named_barrier, 0
	.set _ZN9rocsparseL29bsrmmnt_small_blockdim_kernelILj64ELj64ELj2EllaaiiEEv20rocsparse_direction_T3_S2_llNS_24const_host_device_scalarIT7_EEPKT2_PKS2_PKT4_PKT5_llS5_PT6_ll16rocsparse_order_21rocsparse_index_base_b.private_seg_size, 0
	.set _ZN9rocsparseL29bsrmmnt_small_blockdim_kernelILj64ELj64ELj2EllaaiiEEv20rocsparse_direction_T3_S2_llNS_24const_host_device_scalarIT7_EEPKT2_PKS2_PKT4_PKT5_llS5_PT6_ll16rocsparse_order_21rocsparse_index_base_b.uses_vcc, 1
	.set _ZN9rocsparseL29bsrmmnt_small_blockdim_kernelILj64ELj64ELj2EllaaiiEEv20rocsparse_direction_T3_S2_llNS_24const_host_device_scalarIT7_EEPKT2_PKS2_PKT4_PKT5_llS5_PT6_ll16rocsparse_order_21rocsparse_index_base_b.uses_flat_scratch, 0
	.set _ZN9rocsparseL29bsrmmnt_small_blockdim_kernelILj64ELj64ELj2EllaaiiEEv20rocsparse_direction_T3_S2_llNS_24const_host_device_scalarIT7_EEPKT2_PKS2_PKT4_PKT5_llS5_PT6_ll16rocsparse_order_21rocsparse_index_base_b.has_dyn_sized_stack, 0
	.set _ZN9rocsparseL29bsrmmnt_small_blockdim_kernelILj64ELj64ELj2EllaaiiEEv20rocsparse_direction_T3_S2_llNS_24const_host_device_scalarIT7_EEPKT2_PKS2_PKT4_PKT5_llS5_PT6_ll16rocsparse_order_21rocsparse_index_base_b.has_recursion, 0
	.set _ZN9rocsparseL29bsrmmnt_small_blockdim_kernelILj64ELj64ELj2EllaaiiEEv20rocsparse_direction_T3_S2_llNS_24const_host_device_scalarIT7_EEPKT2_PKS2_PKT4_PKT5_llS5_PT6_ll16rocsparse_order_21rocsparse_index_base_b.has_indirect_call, 0
	.section	.AMDGPU.csdata,"",@progbits
; Kernel info:
; codeLenInByte = 1416
; TotalNumSgprs: 27
; NumVgprs: 34
; ScratchSize: 0
; MemoryBound: 0
; FloatMode: 240
; IeeeMode: 1
; LDSByteSize: 704 bytes/workgroup (compile time only)
; SGPRBlocks: 0
; VGPRBlocks: 2
; NumSGPRsForWavesPerEU: 27
; NumVGPRsForWavesPerEU: 34
; NamedBarCnt: 0
; Occupancy: 16
; WaveLimiterHint : 1
; COMPUTE_PGM_RSRC2:SCRATCH_EN: 0
; COMPUTE_PGM_RSRC2:USER_SGPR: 2
; COMPUTE_PGM_RSRC2:TRAP_HANDLER: 0
; COMPUTE_PGM_RSRC2:TGID_X_EN: 1
; COMPUTE_PGM_RSRC2:TGID_Y_EN: 0
; COMPUTE_PGM_RSRC2:TGID_Z_EN: 0
; COMPUTE_PGM_RSRC2:TIDIG_COMP_CNT: 0
	.section	.text._ZN9rocsparseL29bsrmmnt_small_blockdim_kernelILj64ELj8ELj2EiiaaffEEv20rocsparse_direction_T3_S2_llNS_24const_host_device_scalarIT7_EEPKT2_PKS2_PKT4_PKT5_llS5_PT6_ll16rocsparse_order_21rocsparse_index_base_b,"axG",@progbits,_ZN9rocsparseL29bsrmmnt_small_blockdim_kernelILj64ELj8ELj2EiiaaffEEv20rocsparse_direction_T3_S2_llNS_24const_host_device_scalarIT7_EEPKT2_PKS2_PKT4_PKT5_llS5_PT6_ll16rocsparse_order_21rocsparse_index_base_b,comdat
	.globl	_ZN9rocsparseL29bsrmmnt_small_blockdim_kernelILj64ELj8ELj2EiiaaffEEv20rocsparse_direction_T3_S2_llNS_24const_host_device_scalarIT7_EEPKT2_PKS2_PKT4_PKT5_llS5_PT6_ll16rocsparse_order_21rocsparse_index_base_b ; -- Begin function _ZN9rocsparseL29bsrmmnt_small_blockdim_kernelILj64ELj8ELj2EiiaaffEEv20rocsparse_direction_T3_S2_llNS_24const_host_device_scalarIT7_EEPKT2_PKS2_PKT4_PKT5_llS5_PT6_ll16rocsparse_order_21rocsparse_index_base_b
	.p2align	8
	.type	_ZN9rocsparseL29bsrmmnt_small_blockdim_kernelILj64ELj8ELj2EiiaaffEEv20rocsparse_direction_T3_S2_llNS_24const_host_device_scalarIT7_EEPKT2_PKS2_PKT4_PKT5_llS5_PT6_ll16rocsparse_order_21rocsparse_index_base_b,@function
_ZN9rocsparseL29bsrmmnt_small_blockdim_kernelILj64ELj8ELj2EiiaaffEEv20rocsparse_direction_T3_S2_llNS_24const_host_device_scalarIT7_EEPKT2_PKS2_PKT4_PKT5_llS5_PT6_ll16rocsparse_order_21rocsparse_index_base_b: ; @_ZN9rocsparseL29bsrmmnt_small_blockdim_kernelILj64ELj8ELj2EiiaaffEEv20rocsparse_direction_T3_S2_llNS_24const_host_device_scalarIT7_EEPKT2_PKS2_PKT4_PKT5_llS5_PT6_ll16rocsparse_order_21rocsparse_index_base_b
; %bb.0:
	s_clause 0x2
	s_load_b96 s[16:18], s[0:1], 0x78
	s_load_b64 s[2:3], s[0:1], 0x20
	s_load_b64 s[24:25], s[0:1], 0x58
	s_wait_kmcnt 0x0
	s_bitcmp1_b32 s18, 0
	s_cselect_b32 s4, -1, 0
	s_delay_alu instid0(SALU_CYCLE_1)
	s_and_b32 vcc_lo, exec_lo, s4
	s_xor_b32 s4, s4, -1
	s_cbranch_vccnz .LBB93_2
; %bb.1:
	s_load_b32 s2, s[2:3], 0x0
.LBB93_2:
	s_and_not1_b32 vcc_lo, exec_lo, s4
	s_cbranch_vccnz .LBB93_4
; %bb.3:
	s_load_b32 s24, s[24:25], 0x0
.LBB93_4:
	s_wait_kmcnt 0x0
	s_cmp_eq_f32 s2, 0
	s_cselect_b32 s3, -1, 0
	s_cmp_eq_f32 s24, 1.0
	s_cselect_b32 s4, -1, 0
	s_delay_alu instid0(SALU_CYCLE_1) | instskip(NEXT) | instid1(SALU_CYCLE_1)
	s_and_b32 s3, s3, s4
	s_and_b32 vcc_lo, exec_lo, s3
	s_cbranch_vccnz .LBB93_30
; %bb.5:
	s_clause 0x1
	s_load_b32 s3, s[0:1], 0x94
	s_load_b96 s[20:22], s[0:1], 0x0
	s_bfe_u32 s4, ttmp6, 0x4000c
	s_and_b32 s5, ttmp6, 15
	s_add_co_i32 s4, s4, 1
	s_getreg_b32 s6, hwreg(HW_REG_IB_STS2, 6, 4)
	s_mul_i32 s4, ttmp9, s4
	s_delay_alu instid0(SALU_CYCLE_1) | instskip(SKIP_4) | instid1(SALU_CYCLE_1)
	s_add_co_i32 s5, s5, s4
	s_wait_kmcnt 0x0
	s_and_b32 s3, s3, 0xffff
	s_cmp_eq_u32 s6, 0
	s_cselect_b32 s4, ttmp9, s5
	v_mad_u32 v1, s4, s3, v0
	s_mov_b32 s3, exec_lo
	s_delay_alu instid0(VALU_DEP_1) | instskip(NEXT) | instid1(VALU_DEP_1)
	v_lshrrev_b32_e32 v2, 4, v1
	v_cmpx_gt_i32_e64 s21, v2
	s_cbranch_execz .LBB93_30
; %bb.6:
	s_cmp_lt_i32 s22, 1
	s_cbranch_scc1 .LBB93_30
; %bb.7:
	s_load_b256 s[4:11], s[0:1], 0x28
	v_dual_mov_b32 v3, 0 :: v_dual_lshlrev_b32 v2, 2, v2
	s_load_b128 s[12:15], s[0:1], 0x60
	s_cmp_eq_u32 s20, 0
	v_and_b32_e32 v8, 7, v0
	s_cselect_b32 vcc_lo, -1, 0
	s_cmp_neq_f32 s24, 0
	s_delay_alu instid0(VALU_DEP_1)
	v_mul_u32_u24_e32 v16, 3, v8
	s_cselect_b32 s3, -1, 0
	s_cmp_lg_u32 s16, 1
	s_wait_kmcnt 0x0
	global_load_b64 v[4:5], v2, s[4:5]
	s_wait_xcnt 0x0
	v_lshrrev_b32_e32 v2, 3, v1
	s_load_b64 s[4:5], s[0:1], 0x48
	v_bfe_u32 v1, v1, 3, 1
	v_lshrrev_b32_e32 v0, 3, v0
	s_delay_alu instid0(VALU_DEP_3) | instskip(NEXT) | instid1(VALU_DEP_3)
	v_mul_u64_e32 v[6:7], s[14:15], v[2:3]
	v_dual_lshlrev_b32 v2, 2, v2 :: v_dual_bitop2_b32 v13, 2, v1 bitop3:0x54
	s_delay_alu instid0(VALU_DEP_3) | instskip(SKIP_1) | instid1(VALU_DEP_2)
	v_dual_lshlrev_b32 v12, 1, v1 :: v_dual_lshlrev_b32 v9, 5, v0
	v_mul_u32_u24_e32 v0, 24, v0
	v_dual_cndmask_b32 v12, v1, v12, vcc_lo :: v_dual_bitop2_b32 v14, 1, v12 bitop3:0x54
	s_delay_alu instid0(VALU_DEP_2) | instskip(SKIP_2) | instid1(VALU_DEP_3)
	v_or_b32_e32 v11, 0x100, v0
	v_add_nc_u64_e32 v[0:1], s[12:13], v[2:3]
	v_lshl_or_b32 v10, v8, 2, v9
	v_dual_cndmask_b32 v13, v13, v14 :: v_dual_add_nc_u32 v16, v11, v16
	v_lshl_add_u64 v[2:3], v[6:7], 2, s[12:13]
	s_mov_b32 s12, 0
	s_cselect_b32 s13, -1, 0
	s_wait_loadcnt 0x0
	v_subrev_nc_u32_e32 v14, s17, v4
	v_subrev_nc_u32_e32 v15, s17, v5
	s_wait_xcnt 0x0
	v_cmp_lt_i32_e64 s0, v4, v5
	s_branch .LBB93_9
.LBB93_8:                               ;   in Loop: Header=BB93_9 Depth=1
	s_wait_xcnt 0x0
	s_or_b32 exec_lo, exec_lo, s1
	s_add_co_i32 s12, s12, 8
	s_delay_alu instid0(SALU_CYCLE_1)
	s_cmp_lt_i32 s12, s22
	s_cbranch_scc0 .LBB93_30
.LBB93_9:                               ; =>This Loop Header: Depth=1
                                        ;     Child Loop BB93_12 Depth 2
                                        ;       Child Loop BB93_16 Depth 3
	v_dual_mov_b32 v17, 0 :: v_dual_bitop2_b32 v4, s12, v8 bitop3:0x54
	s_delay_alu instid0(VALU_DEP_1) | instskip(NEXT) | instid1(VALU_DEP_3)
	v_ashrrev_i32_e32 v5, 31, v4
	s_and_saveexec_b32 s16, s0
	s_cbranch_execz .LBB93_18
; %bb.10:                               ;   in Loop: Header=BB93_9 Depth=1
	s_delay_alu instid0(VALU_DEP_1)
	v_add_nc_u64_e32 v[6:7], s[10:11], v[4:5]
	v_dual_mov_b32 v17, 0 :: v_dual_mov_b32 v18, v14
	s_mov_b32 s18, 0
	v_cmp_gt_i32_e32 vcc_lo, s22, v4
	s_branch .LBB93_12
.LBB93_11:                              ;   in Loop: Header=BB93_12 Depth=2
	s_wait_xcnt 0x0
	s_or_b32 exec_lo, exec_lo, s1
	v_add_nc_u32_e32 v18, 8, v18
	s_delay_alu instid0(VALU_DEP_1) | instskip(SKIP_1) | instid1(SALU_CYCLE_1)
	v_cmp_ge_i32_e64 s1, v18, v15
	s_or_b32 s18, s1, s18
	s_and_not1_b32 exec_lo, exec_lo, s18
	s_cbranch_execz .LBB93_17
.LBB93_12:                              ;   Parent Loop BB93_9 Depth=1
                                        ; =>  This Loop Header: Depth=2
                                        ;       Child Loop BB93_16 Depth 3
	s_delay_alu instid0(VALU_DEP_2) | instskip(SKIP_2) | instid1(VALU_DEP_2)
	v_dual_mov_b32 v21, 0 :: v_dual_add_nc_u32 v22, v18, v8
	v_dual_mov_b32 v19, 0 :: v_dual_mov_b32 v20, 0
	s_mov_b32 s19, exec_lo
	v_cmpx_lt_i32_e64 v22, v15
	s_cbranch_execz .LBB93_14
; %bb.13:                               ;   in Loop: Header=BB93_12 Depth=2
	global_load_b32 v21, v22, s[6:7] scale_offset
	s_wait_loadcnt 0x0
	v_subrev_nc_u32_e32 v21, s17, v21
	s_delay_alu instid0(VALU_DEP_1) | instskip(SKIP_1) | instid1(VALU_DEP_1)
	v_dual_lshlrev_b32 v19, 2, v22 :: v_dual_lshlrev_b32 v21, 1, v21
	s_wait_xcnt 0x0
	v_or_b32_e32 v22, v19, v12
	v_or_b32_e32 v23, v19, v13
	s_clause 0x1
	global_load_u8 v19, v22, s[8:9]
	global_load_u8 v20, v23, s[8:9]
.LBB93_14:                              ;   in Loop: Header=BB93_12 Depth=2
	s_wait_xcnt 0x0
	s_or_b32 exec_lo, exec_lo, s19
	ds_store_b32 v10, v21
	s_wait_loadcnt 0x1
	ds_store_b8 v16, v19
	s_wait_loadcnt 0x0
	ds_store_b8 v16, v20 offset:1
	s_wait_dscnt 0x0
	s_barrier_signal -1
	s_barrier_wait -1
	s_and_saveexec_b32 s1, vcc_lo
	s_cbranch_execz .LBB93_11
; %bb.15:                               ;   in Loop: Header=BB93_12 Depth=2
	v_mov_b32_e32 v19, v11
	s_mov_b32 s19, 0
.LBB93_16:                              ;   Parent Loop BB93_9 Depth=1
                                        ;     Parent Loop BB93_12 Depth=2
                                        ; =>    This Inner Loop Header: Depth=3
	s_delay_alu instid0(SALU_CYCLE_1) | instskip(SKIP_1) | instid1(SALU_CYCLE_1)
	v_add_nc_u32_e32 v20, s19, v9
	s_add_co_i32 s19, s19, 8
	s_cmp_lg_u32 s19, 32
	ds_load_b64 v[20:21], v20
	s_wait_dscnt 0x0
	s_wait_kmcnt 0x0
	v_mad_nc_u64_u32 v[22:23], s4, v20, v[6:7]
	v_dual_add_nc_u32 v30, 1, v20 :: v_dual_add_nc_u32 v31, 1, v21
	v_mad_nc_u64_u32 v[26:27], s4, v21, v[6:7]
	s_delay_alu instid0(VALU_DEP_2) | instskip(SKIP_1) | instid1(VALU_DEP_3)
	v_mad_nc_u64_u32 v[24:25], s4, v30, v[6:7]
	s_wait_xcnt 0x0
	v_mad_nc_u64_u32 v[28:29], s4, v31, v[6:7]
	v_mad_u32 v23, s5, v20, v23
	v_ashrrev_i32_e32 v20, 31, v20
	v_mad_u32 v27, s5, v21, v27
	v_mad_u32 v25, s5, v30, v25
	v_ashrrev_i32_e32 v30, 31, v30
	s_delay_alu instid0(VALU_DEP_4) | instskip(SKIP_4) | instid1(VALU_DEP_4)
	v_mad_u32 v23, s4, v20, v23
	v_ashrrev_i32_e32 v20, 31, v21
	v_mad_u32 v21, s5, v31, v29
	v_ashrrev_i32_e32 v29, 31, v31
	v_mad_u32 v25, s4, v30, v25
	v_mad_u32 v27, s4, v20, v27
	global_load_i8 v20, v[22:23], off
	v_mad_u32 v29, s4, v29, v21
	s_clause 0x2
	global_load_i8 v21, v[24:25], off
	global_load_i8 v22, v[26:27], off
	;; [unrolled: 1-line block ×3, first 2 shown]
	s_wait_xcnt 0x2
	ds_load_u16 v24, v19
	ds_load_i8 v25, v19 offset:3
	s_wait_xcnt 0x1
	ds_load_i8 v26, v19 offset:4
	v_add_nc_u32_e32 v19, 6, v19
	s_wait_dscnt 0x2
	v_bfe_i32 v27, v24, 0, 8
	v_ashrrev_i16 v24, 8, v24
	s_delay_alu instid0(VALU_DEP_2) | instskip(NEXT) | instid1(VALU_DEP_2)
	v_bfe_i32 v27, v27, 0, 16
	v_bfe_i32 v24, v24, 0, 16
	s_delay_alu instid0(VALU_DEP_2) | instskip(NEXT) | instid1(VALU_DEP_2)
	v_cvt_f32_i32_e32 v27, v27
	v_cvt_f32_i32_e32 v24, v24
	s_wait_loadcnt 0x3
	v_cvt_f32_i32_e32 v20, v20
	s_delay_alu instid0(VALU_DEP_1)
	v_fmac_f32_e32 v17, v27, v20
	s_wait_loadcnt 0x2
	v_cvt_f32_i32_e32 v20, v21
	s_wait_dscnt 0x1
	v_cvt_f32_i32_e32 v21, v25
	s_wait_loadcnt 0x1
	v_cvt_f32_i32_e32 v22, v22
	s_wait_loadcnt 0x0
	v_cvt_f32_i32_e32 v23, v23
	v_fmac_f32_e32 v17, v24, v20
	s_wait_dscnt 0x0
	v_cvt_f32_i32_e32 v20, v26
	s_delay_alu instid0(VALU_DEP_2) | instskip(NEXT) | instid1(VALU_DEP_1)
	v_fmac_f32_e32 v17, v21, v22
	v_fmac_f32_e32 v17, v20, v23
	s_cbranch_scc1 .LBB93_16
	s_branch .LBB93_11
.LBB93_17:                              ;   in Loop: Header=BB93_9 Depth=1
	s_or_b32 exec_lo, exec_lo, s18
.LBB93_18:                              ;   in Loop: Header=BB93_9 Depth=1
	s_delay_alu instid0(SALU_CYCLE_1) | instskip(NEXT) | instid1(SALU_CYCLE_1)
	s_or_b32 exec_lo, exec_lo, s16
	s_mov_b32 s1, exec_lo
	v_cmpx_gt_i32_e64 s22, v4
	s_cbranch_execz .LBB93_8
; %bb.19:                               ;   in Loop: Header=BB93_9 Depth=1
	s_and_b32 vcc_lo, exec_lo, s3
	s_cbranch_vccz .LBB93_25
; %bb.20:                               ;   in Loop: Header=BB93_9 Depth=1
	s_and_b32 vcc_lo, exec_lo, s13
	s_mov_b32 s16, -1
	s_cbranch_vccz .LBB93_22
; %bb.21:                               ;   in Loop: Header=BB93_9 Depth=1
	v_lshl_add_u64 v[6:7], v[4:5], 2, v[2:3]
	v_mul_f32_e32 v19, s2, v17
	s_mov_b32 s16, 0
	global_load_b32 v18, v[6:7], off
	s_wait_loadcnt 0x0
	v_fmac_f32_e32 v19, s24, v18
	global_store_b32 v[6:7], v19, off
.LBB93_22:                              ;   in Loop: Header=BB93_9 Depth=1
	s_and_not1_b32 vcc_lo, exec_lo, s16
	s_cbranch_vccnz .LBB93_24
; %bb.23:                               ;   in Loop: Header=BB93_9 Depth=1
	s_wait_xcnt 0x0
	v_mul_u64_e32 v[6:7], s[14:15], v[4:5]
	v_mul_f32_e32 v19, s2, v17
	s_delay_alu instid0(VALU_DEP_2)
	v_lshl_add_u64 v[6:7], v[6:7], 2, v[0:1]
	global_load_b32 v18, v[6:7], off
	s_wait_loadcnt 0x0
	v_fmac_f32_e32 v19, s24, v18
	global_store_b32 v[6:7], v19, off
.LBB93_24:                              ;   in Loop: Header=BB93_9 Depth=1
	s_cbranch_execnz .LBB93_8
	s_branch .LBB93_26
.LBB93_25:                              ;   in Loop: Header=BB93_9 Depth=1
.LBB93_26:                              ;   in Loop: Header=BB93_9 Depth=1
	s_wait_xcnt 0x0
	v_mul_f32_e32 v6, s2, v17
	s_and_b32 vcc_lo, exec_lo, s13
	s_mov_b32 s16, -1
	s_cbranch_vccz .LBB93_28
; %bb.27:                               ;   in Loop: Header=BB93_9 Depth=1
	v_lshl_add_u64 v[18:19], v[4:5], 2, v[2:3]
	s_mov_b32 s16, 0
	global_store_b32 v[18:19], v6, off
.LBB93_28:                              ;   in Loop: Header=BB93_9 Depth=1
	s_and_not1_b32 vcc_lo, exec_lo, s16
	s_cbranch_vccnz .LBB93_8
; %bb.29:                               ;   in Loop: Header=BB93_9 Depth=1
	v_mul_u64_e32 v[4:5], s[14:15], v[4:5]
	s_delay_alu instid0(VALU_DEP_1)
	v_lshl_add_u64 v[4:5], v[4:5], 2, v[0:1]
	global_store_b32 v[4:5], v6, off
	s_branch .LBB93_8
.LBB93_30:
	s_endpgm
	.section	.rodata,"a",@progbits
	.p2align	6, 0x0
	.amdhsa_kernel _ZN9rocsparseL29bsrmmnt_small_blockdim_kernelILj64ELj8ELj2EiiaaffEEv20rocsparse_direction_T3_S2_llNS_24const_host_device_scalarIT7_EEPKT2_PKS2_PKT4_PKT5_llS5_PT6_ll16rocsparse_order_21rocsparse_index_base_b
		.amdhsa_group_segment_fixed_size 448
		.amdhsa_private_segment_fixed_size 0
		.amdhsa_kernarg_size 392
		.amdhsa_user_sgpr_count 2
		.amdhsa_user_sgpr_dispatch_ptr 0
		.amdhsa_user_sgpr_queue_ptr 0
		.amdhsa_user_sgpr_kernarg_segment_ptr 1
		.amdhsa_user_sgpr_dispatch_id 0
		.amdhsa_user_sgpr_kernarg_preload_length 0
		.amdhsa_user_sgpr_kernarg_preload_offset 0
		.amdhsa_user_sgpr_private_segment_size 0
		.amdhsa_wavefront_size32 1
		.amdhsa_uses_dynamic_stack 0
		.amdhsa_enable_private_segment 0
		.amdhsa_system_sgpr_workgroup_id_x 1
		.amdhsa_system_sgpr_workgroup_id_y 0
		.amdhsa_system_sgpr_workgroup_id_z 0
		.amdhsa_system_sgpr_workgroup_info 0
		.amdhsa_system_vgpr_workitem_id 0
		.amdhsa_next_free_vgpr 32
		.amdhsa_next_free_sgpr 26
		.amdhsa_named_barrier_count 0
		.amdhsa_reserve_vcc 1
		.amdhsa_float_round_mode_32 0
		.amdhsa_float_round_mode_16_64 0
		.amdhsa_float_denorm_mode_32 3
		.amdhsa_float_denorm_mode_16_64 3
		.amdhsa_fp16_overflow 0
		.amdhsa_memory_ordered 1
		.amdhsa_forward_progress 1
		.amdhsa_inst_pref_size 11
		.amdhsa_round_robin_scheduling 0
		.amdhsa_exception_fp_ieee_invalid_op 0
		.amdhsa_exception_fp_denorm_src 0
		.amdhsa_exception_fp_ieee_div_zero 0
		.amdhsa_exception_fp_ieee_overflow 0
		.amdhsa_exception_fp_ieee_underflow 0
		.amdhsa_exception_fp_ieee_inexact 0
		.amdhsa_exception_int_div_zero 0
	.end_amdhsa_kernel
	.section	.text._ZN9rocsparseL29bsrmmnt_small_blockdim_kernelILj64ELj8ELj2EiiaaffEEv20rocsparse_direction_T3_S2_llNS_24const_host_device_scalarIT7_EEPKT2_PKS2_PKT4_PKT5_llS5_PT6_ll16rocsparse_order_21rocsparse_index_base_b,"axG",@progbits,_ZN9rocsparseL29bsrmmnt_small_blockdim_kernelILj64ELj8ELj2EiiaaffEEv20rocsparse_direction_T3_S2_llNS_24const_host_device_scalarIT7_EEPKT2_PKS2_PKT4_PKT5_llS5_PT6_ll16rocsparse_order_21rocsparse_index_base_b,comdat
.Lfunc_end93:
	.size	_ZN9rocsparseL29bsrmmnt_small_blockdim_kernelILj64ELj8ELj2EiiaaffEEv20rocsparse_direction_T3_S2_llNS_24const_host_device_scalarIT7_EEPKT2_PKS2_PKT4_PKT5_llS5_PT6_ll16rocsparse_order_21rocsparse_index_base_b, .Lfunc_end93-_ZN9rocsparseL29bsrmmnt_small_blockdim_kernelILj64ELj8ELj2EiiaaffEEv20rocsparse_direction_T3_S2_llNS_24const_host_device_scalarIT7_EEPKT2_PKS2_PKT4_PKT5_llS5_PT6_ll16rocsparse_order_21rocsparse_index_base_b
                                        ; -- End function
	.set _ZN9rocsparseL29bsrmmnt_small_blockdim_kernelILj64ELj8ELj2EiiaaffEEv20rocsparse_direction_T3_S2_llNS_24const_host_device_scalarIT7_EEPKT2_PKS2_PKT4_PKT5_llS5_PT6_ll16rocsparse_order_21rocsparse_index_base_b.num_vgpr, 32
	.set _ZN9rocsparseL29bsrmmnt_small_blockdim_kernelILj64ELj8ELj2EiiaaffEEv20rocsparse_direction_T3_S2_llNS_24const_host_device_scalarIT7_EEPKT2_PKS2_PKT4_PKT5_llS5_PT6_ll16rocsparse_order_21rocsparse_index_base_b.num_agpr, 0
	.set _ZN9rocsparseL29bsrmmnt_small_blockdim_kernelILj64ELj8ELj2EiiaaffEEv20rocsparse_direction_T3_S2_llNS_24const_host_device_scalarIT7_EEPKT2_PKS2_PKT4_PKT5_llS5_PT6_ll16rocsparse_order_21rocsparse_index_base_b.numbered_sgpr, 26
	.set _ZN9rocsparseL29bsrmmnt_small_blockdim_kernelILj64ELj8ELj2EiiaaffEEv20rocsparse_direction_T3_S2_llNS_24const_host_device_scalarIT7_EEPKT2_PKS2_PKT4_PKT5_llS5_PT6_ll16rocsparse_order_21rocsparse_index_base_b.num_named_barrier, 0
	.set _ZN9rocsparseL29bsrmmnt_small_blockdim_kernelILj64ELj8ELj2EiiaaffEEv20rocsparse_direction_T3_S2_llNS_24const_host_device_scalarIT7_EEPKT2_PKS2_PKT4_PKT5_llS5_PT6_ll16rocsparse_order_21rocsparse_index_base_b.private_seg_size, 0
	.set _ZN9rocsparseL29bsrmmnt_small_blockdim_kernelILj64ELj8ELj2EiiaaffEEv20rocsparse_direction_T3_S2_llNS_24const_host_device_scalarIT7_EEPKT2_PKS2_PKT4_PKT5_llS5_PT6_ll16rocsparse_order_21rocsparse_index_base_b.uses_vcc, 1
	.set _ZN9rocsparseL29bsrmmnt_small_blockdim_kernelILj64ELj8ELj2EiiaaffEEv20rocsparse_direction_T3_S2_llNS_24const_host_device_scalarIT7_EEPKT2_PKS2_PKT4_PKT5_llS5_PT6_ll16rocsparse_order_21rocsparse_index_base_b.uses_flat_scratch, 0
	.set _ZN9rocsparseL29bsrmmnt_small_blockdim_kernelILj64ELj8ELj2EiiaaffEEv20rocsparse_direction_T3_S2_llNS_24const_host_device_scalarIT7_EEPKT2_PKS2_PKT4_PKT5_llS5_PT6_ll16rocsparse_order_21rocsparse_index_base_b.has_dyn_sized_stack, 0
	.set _ZN9rocsparseL29bsrmmnt_small_blockdim_kernelILj64ELj8ELj2EiiaaffEEv20rocsparse_direction_T3_S2_llNS_24const_host_device_scalarIT7_EEPKT2_PKS2_PKT4_PKT5_llS5_PT6_ll16rocsparse_order_21rocsparse_index_base_b.has_recursion, 0
	.set _ZN9rocsparseL29bsrmmnt_small_blockdim_kernelILj64ELj8ELj2EiiaaffEEv20rocsparse_direction_T3_S2_llNS_24const_host_device_scalarIT7_EEPKT2_PKS2_PKT4_PKT5_llS5_PT6_ll16rocsparse_order_21rocsparse_index_base_b.has_indirect_call, 0
	.section	.AMDGPU.csdata,"",@progbits
; Kernel info:
; codeLenInByte = 1396
; TotalNumSgprs: 28
; NumVgprs: 32
; ScratchSize: 0
; MemoryBound: 0
; FloatMode: 240
; IeeeMode: 1
; LDSByteSize: 448 bytes/workgroup (compile time only)
; SGPRBlocks: 0
; VGPRBlocks: 1
; NumSGPRsForWavesPerEU: 28
; NumVGPRsForWavesPerEU: 32
; NamedBarCnt: 0
; Occupancy: 16
; WaveLimiterHint : 0
; COMPUTE_PGM_RSRC2:SCRATCH_EN: 0
; COMPUTE_PGM_RSRC2:USER_SGPR: 2
; COMPUTE_PGM_RSRC2:TRAP_HANDLER: 0
; COMPUTE_PGM_RSRC2:TGID_X_EN: 1
; COMPUTE_PGM_RSRC2:TGID_Y_EN: 0
; COMPUTE_PGM_RSRC2:TGID_Z_EN: 0
; COMPUTE_PGM_RSRC2:TIDIG_COMP_CNT: 0
	.section	.text._ZN9rocsparseL29bsrmmnt_small_blockdim_kernelILj64ELj16ELj2EiiaaffEEv20rocsparse_direction_T3_S2_llNS_24const_host_device_scalarIT7_EEPKT2_PKS2_PKT4_PKT5_llS5_PT6_ll16rocsparse_order_21rocsparse_index_base_b,"axG",@progbits,_ZN9rocsparseL29bsrmmnt_small_blockdim_kernelILj64ELj16ELj2EiiaaffEEv20rocsparse_direction_T3_S2_llNS_24const_host_device_scalarIT7_EEPKT2_PKS2_PKT4_PKT5_llS5_PT6_ll16rocsparse_order_21rocsparse_index_base_b,comdat
	.globl	_ZN9rocsparseL29bsrmmnt_small_blockdim_kernelILj64ELj16ELj2EiiaaffEEv20rocsparse_direction_T3_S2_llNS_24const_host_device_scalarIT7_EEPKT2_PKS2_PKT4_PKT5_llS5_PT6_ll16rocsparse_order_21rocsparse_index_base_b ; -- Begin function _ZN9rocsparseL29bsrmmnt_small_blockdim_kernelILj64ELj16ELj2EiiaaffEEv20rocsparse_direction_T3_S2_llNS_24const_host_device_scalarIT7_EEPKT2_PKS2_PKT4_PKT5_llS5_PT6_ll16rocsparse_order_21rocsparse_index_base_b
	.p2align	8
	.type	_ZN9rocsparseL29bsrmmnt_small_blockdim_kernelILj64ELj16ELj2EiiaaffEEv20rocsparse_direction_T3_S2_llNS_24const_host_device_scalarIT7_EEPKT2_PKS2_PKT4_PKT5_llS5_PT6_ll16rocsparse_order_21rocsparse_index_base_b,@function
_ZN9rocsparseL29bsrmmnt_small_blockdim_kernelILj64ELj16ELj2EiiaaffEEv20rocsparse_direction_T3_S2_llNS_24const_host_device_scalarIT7_EEPKT2_PKS2_PKT4_PKT5_llS5_PT6_ll16rocsparse_order_21rocsparse_index_base_b: ; @_ZN9rocsparseL29bsrmmnt_small_blockdim_kernelILj64ELj16ELj2EiiaaffEEv20rocsparse_direction_T3_S2_llNS_24const_host_device_scalarIT7_EEPKT2_PKS2_PKT4_PKT5_llS5_PT6_ll16rocsparse_order_21rocsparse_index_base_b
; %bb.0:
	s_clause 0x2
	s_load_b96 s[16:18], s[0:1], 0x78
	s_load_b64 s[2:3], s[0:1], 0x20
	s_load_b64 s[24:25], s[0:1], 0x58
	s_wait_kmcnt 0x0
	s_bitcmp1_b32 s18, 0
	s_cselect_b32 s4, -1, 0
	s_delay_alu instid0(SALU_CYCLE_1)
	s_and_b32 vcc_lo, exec_lo, s4
	s_xor_b32 s4, s4, -1
	s_cbranch_vccnz .LBB94_2
; %bb.1:
	s_load_b32 s2, s[2:3], 0x0
.LBB94_2:
	s_and_not1_b32 vcc_lo, exec_lo, s4
	s_cbranch_vccnz .LBB94_4
; %bb.3:
	s_load_b32 s24, s[24:25], 0x0
.LBB94_4:
	s_wait_kmcnt 0x0
	s_cmp_eq_f32 s2, 0
	s_cselect_b32 s3, -1, 0
	s_cmp_eq_f32 s24, 1.0
	s_cselect_b32 s4, -1, 0
	s_delay_alu instid0(SALU_CYCLE_1) | instskip(NEXT) | instid1(SALU_CYCLE_1)
	s_and_b32 s3, s3, s4
	s_and_b32 vcc_lo, exec_lo, s3
	s_cbranch_vccnz .LBB94_30
; %bb.5:
	s_clause 0x1
	s_load_b32 s3, s[0:1], 0x94
	s_load_b96 s[20:22], s[0:1], 0x0
	s_bfe_u32 s4, ttmp6, 0x4000c
	s_and_b32 s5, ttmp6, 15
	s_add_co_i32 s4, s4, 1
	s_getreg_b32 s6, hwreg(HW_REG_IB_STS2, 6, 4)
	s_mul_i32 s4, ttmp9, s4
	s_delay_alu instid0(SALU_CYCLE_1) | instskip(SKIP_4) | instid1(SALU_CYCLE_1)
	s_add_co_i32 s5, s5, s4
	s_wait_kmcnt 0x0
	s_and_b32 s3, s3, 0xffff
	s_cmp_eq_u32 s6, 0
	s_cselect_b32 s4, ttmp9, s5
	v_mad_u32 v1, s4, s3, v0
	s_mov_b32 s3, exec_lo
	s_delay_alu instid0(VALU_DEP_1) | instskip(NEXT) | instid1(VALU_DEP_1)
	v_lshrrev_b32_e32 v2, 5, v1
	v_cmpx_gt_i32_e64 s21, v2
	s_cbranch_execz .LBB94_30
; %bb.6:
	s_cmp_lt_i32 s22, 1
	s_cbranch_scc1 .LBB94_30
; %bb.7:
	s_load_b256 s[4:11], s[0:1], 0x28
	v_dual_mov_b32 v3, 0 :: v_dual_lshlrev_b32 v2, 2, v2
	s_load_b128 s[12:15], s[0:1], 0x60
	s_cmp_eq_u32 s20, 0
	v_and_b32_e32 v8, 15, v0
	s_cselect_b32 vcc_lo, -1, 0
	s_cmp_neq_f32 s24, 0
	s_delay_alu instid0(VALU_DEP_1)
	v_mul_u32_u24_e32 v16, 3, v8
	s_cselect_b32 s3, -1, 0
	s_cmp_lg_u32 s16, 1
	s_wait_kmcnt 0x0
	global_load_b64 v[4:5], v2, s[4:5]
	s_wait_xcnt 0x0
	v_lshrrev_b32_e32 v2, 4, v1
	s_load_b64 s[4:5], s[0:1], 0x48
	v_bfe_u32 v1, v1, 4, 1
	v_lshrrev_b32_e32 v0, 4, v0
	s_delay_alu instid0(VALU_DEP_3) | instskip(NEXT) | instid1(VALU_DEP_3)
	v_mul_u64_e32 v[6:7], s[14:15], v[2:3]
	v_dual_lshlrev_b32 v2, 2, v2 :: v_dual_bitop2_b32 v13, 2, v1 bitop3:0x54
	s_delay_alu instid0(VALU_DEP_3) | instskip(SKIP_1) | instid1(VALU_DEP_2)
	v_dual_lshlrev_b32 v12, 1, v1 :: v_dual_lshlrev_b32 v9, 6, v0
	v_mul_u32_u24_e32 v0, 48, v0
	v_dual_cndmask_b32 v12, v1, v12, vcc_lo :: v_dual_bitop2_b32 v14, 1, v12 bitop3:0x54
	s_delay_alu instid0(VALU_DEP_2) | instskip(SKIP_2) | instid1(VALU_DEP_3)
	v_or_b32_e32 v11, 0x100, v0
	v_add_nc_u64_e32 v[0:1], s[12:13], v[2:3]
	v_lshl_or_b32 v10, v8, 2, v9
	v_dual_cndmask_b32 v13, v13, v14 :: v_dual_add_nc_u32 v16, v11, v16
	v_lshl_add_u64 v[2:3], v[6:7], 2, s[12:13]
	s_mov_b32 s12, 0
	s_cselect_b32 s13, -1, 0
	s_wait_loadcnt 0x0
	v_subrev_nc_u32_e32 v14, s17, v4
	v_subrev_nc_u32_e32 v15, s17, v5
	s_wait_xcnt 0x0
	v_cmp_lt_i32_e64 s0, v4, v5
	s_branch .LBB94_9
.LBB94_8:                               ;   in Loop: Header=BB94_9 Depth=1
	s_wait_xcnt 0x0
	s_or_b32 exec_lo, exec_lo, s1
	s_add_co_i32 s12, s12, 16
	s_delay_alu instid0(SALU_CYCLE_1)
	s_cmp_lt_i32 s12, s22
	s_cbranch_scc0 .LBB94_30
.LBB94_9:                               ; =>This Loop Header: Depth=1
                                        ;     Child Loop BB94_12 Depth 2
                                        ;       Child Loop BB94_16 Depth 3
	v_dual_mov_b32 v17, 0 :: v_dual_bitop2_b32 v4, s12, v8 bitop3:0x54
	s_delay_alu instid0(VALU_DEP_1) | instskip(NEXT) | instid1(VALU_DEP_3)
	v_ashrrev_i32_e32 v5, 31, v4
	s_and_saveexec_b32 s16, s0
	s_cbranch_execz .LBB94_18
; %bb.10:                               ;   in Loop: Header=BB94_9 Depth=1
	s_delay_alu instid0(VALU_DEP_1)
	v_add_nc_u64_e32 v[6:7], s[10:11], v[4:5]
	v_dual_mov_b32 v17, 0 :: v_dual_mov_b32 v18, v14
	s_mov_b32 s18, 0
	v_cmp_gt_i32_e32 vcc_lo, s22, v4
	s_branch .LBB94_12
.LBB94_11:                              ;   in Loop: Header=BB94_12 Depth=2
	s_wait_xcnt 0x0
	s_or_b32 exec_lo, exec_lo, s1
	v_add_nc_u32_e32 v18, 16, v18
	s_delay_alu instid0(VALU_DEP_1) | instskip(SKIP_1) | instid1(SALU_CYCLE_1)
	v_cmp_ge_i32_e64 s1, v18, v15
	s_or_b32 s18, s1, s18
	s_and_not1_b32 exec_lo, exec_lo, s18
	s_cbranch_execz .LBB94_17
.LBB94_12:                              ;   Parent Loop BB94_9 Depth=1
                                        ; =>  This Loop Header: Depth=2
                                        ;       Child Loop BB94_16 Depth 3
	s_delay_alu instid0(VALU_DEP_2) | instskip(SKIP_2) | instid1(VALU_DEP_2)
	v_dual_mov_b32 v21, 0 :: v_dual_add_nc_u32 v22, v18, v8
	v_dual_mov_b32 v19, 0 :: v_dual_mov_b32 v20, 0
	s_mov_b32 s19, exec_lo
	v_cmpx_lt_i32_e64 v22, v15
	s_cbranch_execz .LBB94_14
; %bb.13:                               ;   in Loop: Header=BB94_12 Depth=2
	global_load_b32 v21, v22, s[6:7] scale_offset
	s_wait_loadcnt 0x0
	v_subrev_nc_u32_e32 v21, s17, v21
	s_delay_alu instid0(VALU_DEP_1) | instskip(SKIP_1) | instid1(VALU_DEP_1)
	v_dual_lshlrev_b32 v19, 2, v22 :: v_dual_lshlrev_b32 v21, 1, v21
	s_wait_xcnt 0x0
	v_or_b32_e32 v22, v19, v12
	v_or_b32_e32 v23, v19, v13
	s_clause 0x1
	global_load_u8 v19, v22, s[8:9]
	global_load_u8 v20, v23, s[8:9]
.LBB94_14:                              ;   in Loop: Header=BB94_12 Depth=2
	s_wait_xcnt 0x0
	s_or_b32 exec_lo, exec_lo, s19
	ds_store_b32 v10, v21
	s_wait_loadcnt 0x1
	ds_store_b8 v16, v19
	s_wait_loadcnt 0x0
	ds_store_b8 v16, v20 offset:1
	s_wait_dscnt 0x0
	s_barrier_signal -1
	s_barrier_wait -1
	s_and_saveexec_b32 s1, vcc_lo
	s_cbranch_execz .LBB94_11
; %bb.15:                               ;   in Loop: Header=BB94_12 Depth=2
	v_mov_b32_e32 v19, v11
	s_mov_b32 s19, 0
.LBB94_16:                              ;   Parent Loop BB94_9 Depth=1
                                        ;     Parent Loop BB94_12 Depth=2
                                        ; =>    This Inner Loop Header: Depth=3
	s_delay_alu instid0(SALU_CYCLE_1) | instskip(SKIP_1) | instid1(SALU_CYCLE_1)
	v_add_nc_u32_e32 v20, s19, v9
	s_add_co_i32 s19, s19, 8
	s_cmp_lg_u32 s19, 64
	ds_load_b64 v[20:21], v20
	s_wait_dscnt 0x0
	s_wait_kmcnt 0x0
	v_mad_nc_u64_u32 v[22:23], s4, v20, v[6:7]
	v_dual_add_nc_u32 v30, 1, v20 :: v_dual_add_nc_u32 v31, 1, v21
	v_mad_nc_u64_u32 v[26:27], s4, v21, v[6:7]
	s_delay_alu instid0(VALU_DEP_2) | instskip(SKIP_1) | instid1(VALU_DEP_3)
	v_mad_nc_u64_u32 v[24:25], s4, v30, v[6:7]
	s_wait_xcnt 0x0
	v_mad_nc_u64_u32 v[28:29], s4, v31, v[6:7]
	v_mad_u32 v23, s5, v20, v23
	v_ashrrev_i32_e32 v20, 31, v20
	v_mad_u32 v27, s5, v21, v27
	v_mad_u32 v25, s5, v30, v25
	v_ashrrev_i32_e32 v30, 31, v30
	s_delay_alu instid0(VALU_DEP_4) | instskip(SKIP_4) | instid1(VALU_DEP_4)
	v_mad_u32 v23, s4, v20, v23
	v_ashrrev_i32_e32 v20, 31, v21
	v_mad_u32 v21, s5, v31, v29
	v_ashrrev_i32_e32 v29, 31, v31
	v_mad_u32 v25, s4, v30, v25
	v_mad_u32 v27, s4, v20, v27
	global_load_i8 v20, v[22:23], off
	v_mad_u32 v29, s4, v29, v21
	s_clause 0x2
	global_load_i8 v21, v[24:25], off
	global_load_i8 v22, v[26:27], off
	global_load_i8 v23, v[28:29], off
	s_wait_xcnt 0x2
	ds_load_u16 v24, v19
	ds_load_i8 v25, v19 offset:3
	s_wait_xcnt 0x1
	ds_load_i8 v26, v19 offset:4
	v_add_nc_u32_e32 v19, 6, v19
	s_wait_dscnt 0x2
	v_bfe_i32 v27, v24, 0, 8
	v_ashrrev_i16 v24, 8, v24
	s_delay_alu instid0(VALU_DEP_2) | instskip(NEXT) | instid1(VALU_DEP_2)
	v_bfe_i32 v27, v27, 0, 16
	v_bfe_i32 v24, v24, 0, 16
	s_delay_alu instid0(VALU_DEP_2) | instskip(NEXT) | instid1(VALU_DEP_2)
	v_cvt_f32_i32_e32 v27, v27
	v_cvt_f32_i32_e32 v24, v24
	s_wait_loadcnt 0x3
	v_cvt_f32_i32_e32 v20, v20
	s_delay_alu instid0(VALU_DEP_1)
	v_fmac_f32_e32 v17, v27, v20
	s_wait_loadcnt 0x2
	v_cvt_f32_i32_e32 v20, v21
	s_wait_dscnt 0x1
	v_cvt_f32_i32_e32 v21, v25
	s_wait_loadcnt 0x1
	v_cvt_f32_i32_e32 v22, v22
	s_wait_loadcnt 0x0
	v_cvt_f32_i32_e32 v23, v23
	v_fmac_f32_e32 v17, v24, v20
	s_wait_dscnt 0x0
	v_cvt_f32_i32_e32 v20, v26
	s_delay_alu instid0(VALU_DEP_2) | instskip(NEXT) | instid1(VALU_DEP_1)
	v_fmac_f32_e32 v17, v21, v22
	v_fmac_f32_e32 v17, v20, v23
	s_cbranch_scc1 .LBB94_16
	s_branch .LBB94_11
.LBB94_17:                              ;   in Loop: Header=BB94_9 Depth=1
	s_or_b32 exec_lo, exec_lo, s18
.LBB94_18:                              ;   in Loop: Header=BB94_9 Depth=1
	s_delay_alu instid0(SALU_CYCLE_1) | instskip(NEXT) | instid1(SALU_CYCLE_1)
	s_or_b32 exec_lo, exec_lo, s16
	s_mov_b32 s1, exec_lo
	v_cmpx_gt_i32_e64 s22, v4
	s_cbranch_execz .LBB94_8
; %bb.19:                               ;   in Loop: Header=BB94_9 Depth=1
	s_and_b32 vcc_lo, exec_lo, s3
	s_cbranch_vccz .LBB94_25
; %bb.20:                               ;   in Loop: Header=BB94_9 Depth=1
	s_and_b32 vcc_lo, exec_lo, s13
	s_mov_b32 s16, -1
	s_cbranch_vccz .LBB94_22
; %bb.21:                               ;   in Loop: Header=BB94_9 Depth=1
	v_lshl_add_u64 v[6:7], v[4:5], 2, v[2:3]
	v_mul_f32_e32 v19, s2, v17
	s_mov_b32 s16, 0
	global_load_b32 v18, v[6:7], off
	s_wait_loadcnt 0x0
	v_fmac_f32_e32 v19, s24, v18
	global_store_b32 v[6:7], v19, off
.LBB94_22:                              ;   in Loop: Header=BB94_9 Depth=1
	s_and_not1_b32 vcc_lo, exec_lo, s16
	s_cbranch_vccnz .LBB94_24
; %bb.23:                               ;   in Loop: Header=BB94_9 Depth=1
	s_wait_xcnt 0x0
	v_mul_u64_e32 v[6:7], s[14:15], v[4:5]
	v_mul_f32_e32 v19, s2, v17
	s_delay_alu instid0(VALU_DEP_2)
	v_lshl_add_u64 v[6:7], v[6:7], 2, v[0:1]
	global_load_b32 v18, v[6:7], off
	s_wait_loadcnt 0x0
	v_fmac_f32_e32 v19, s24, v18
	global_store_b32 v[6:7], v19, off
.LBB94_24:                              ;   in Loop: Header=BB94_9 Depth=1
	s_cbranch_execnz .LBB94_8
	s_branch .LBB94_26
.LBB94_25:                              ;   in Loop: Header=BB94_9 Depth=1
.LBB94_26:                              ;   in Loop: Header=BB94_9 Depth=1
	s_wait_xcnt 0x0
	v_mul_f32_e32 v6, s2, v17
	s_and_b32 vcc_lo, exec_lo, s13
	s_mov_b32 s16, -1
	s_cbranch_vccz .LBB94_28
; %bb.27:                               ;   in Loop: Header=BB94_9 Depth=1
	v_lshl_add_u64 v[18:19], v[4:5], 2, v[2:3]
	s_mov_b32 s16, 0
	global_store_b32 v[18:19], v6, off
.LBB94_28:                              ;   in Loop: Header=BB94_9 Depth=1
	s_and_not1_b32 vcc_lo, exec_lo, s16
	s_cbranch_vccnz .LBB94_8
; %bb.29:                               ;   in Loop: Header=BB94_9 Depth=1
	v_mul_u64_e32 v[4:5], s[14:15], v[4:5]
	s_delay_alu instid0(VALU_DEP_1)
	v_lshl_add_u64 v[4:5], v[4:5], 2, v[0:1]
	global_store_b32 v[4:5], v6, off
	s_branch .LBB94_8
.LBB94_30:
	s_endpgm
	.section	.rodata,"a",@progbits
	.p2align	6, 0x0
	.amdhsa_kernel _ZN9rocsparseL29bsrmmnt_small_blockdim_kernelILj64ELj16ELj2EiiaaffEEv20rocsparse_direction_T3_S2_llNS_24const_host_device_scalarIT7_EEPKT2_PKS2_PKT4_PKT5_llS5_PT6_ll16rocsparse_order_21rocsparse_index_base_b
		.amdhsa_group_segment_fixed_size 448
		.amdhsa_private_segment_fixed_size 0
		.amdhsa_kernarg_size 392
		.amdhsa_user_sgpr_count 2
		.amdhsa_user_sgpr_dispatch_ptr 0
		.amdhsa_user_sgpr_queue_ptr 0
		.amdhsa_user_sgpr_kernarg_segment_ptr 1
		.amdhsa_user_sgpr_dispatch_id 0
		.amdhsa_user_sgpr_kernarg_preload_length 0
		.amdhsa_user_sgpr_kernarg_preload_offset 0
		.amdhsa_user_sgpr_private_segment_size 0
		.amdhsa_wavefront_size32 1
		.amdhsa_uses_dynamic_stack 0
		.amdhsa_enable_private_segment 0
		.amdhsa_system_sgpr_workgroup_id_x 1
		.amdhsa_system_sgpr_workgroup_id_y 0
		.amdhsa_system_sgpr_workgroup_id_z 0
		.amdhsa_system_sgpr_workgroup_info 0
		.amdhsa_system_vgpr_workitem_id 0
		.amdhsa_next_free_vgpr 32
		.amdhsa_next_free_sgpr 26
		.amdhsa_named_barrier_count 0
		.amdhsa_reserve_vcc 1
		.amdhsa_float_round_mode_32 0
		.amdhsa_float_round_mode_16_64 0
		.amdhsa_float_denorm_mode_32 3
		.amdhsa_float_denorm_mode_16_64 3
		.amdhsa_fp16_overflow 0
		.amdhsa_memory_ordered 1
		.amdhsa_forward_progress 1
		.amdhsa_inst_pref_size 11
		.amdhsa_round_robin_scheduling 0
		.amdhsa_exception_fp_ieee_invalid_op 0
		.amdhsa_exception_fp_denorm_src 0
		.amdhsa_exception_fp_ieee_div_zero 0
		.amdhsa_exception_fp_ieee_overflow 0
		.amdhsa_exception_fp_ieee_underflow 0
		.amdhsa_exception_fp_ieee_inexact 0
		.amdhsa_exception_int_div_zero 0
	.end_amdhsa_kernel
	.section	.text._ZN9rocsparseL29bsrmmnt_small_blockdim_kernelILj64ELj16ELj2EiiaaffEEv20rocsparse_direction_T3_S2_llNS_24const_host_device_scalarIT7_EEPKT2_PKS2_PKT4_PKT5_llS5_PT6_ll16rocsparse_order_21rocsparse_index_base_b,"axG",@progbits,_ZN9rocsparseL29bsrmmnt_small_blockdim_kernelILj64ELj16ELj2EiiaaffEEv20rocsparse_direction_T3_S2_llNS_24const_host_device_scalarIT7_EEPKT2_PKS2_PKT4_PKT5_llS5_PT6_ll16rocsparse_order_21rocsparse_index_base_b,comdat
.Lfunc_end94:
	.size	_ZN9rocsparseL29bsrmmnt_small_blockdim_kernelILj64ELj16ELj2EiiaaffEEv20rocsparse_direction_T3_S2_llNS_24const_host_device_scalarIT7_EEPKT2_PKS2_PKT4_PKT5_llS5_PT6_ll16rocsparse_order_21rocsparse_index_base_b, .Lfunc_end94-_ZN9rocsparseL29bsrmmnt_small_blockdim_kernelILj64ELj16ELj2EiiaaffEEv20rocsparse_direction_T3_S2_llNS_24const_host_device_scalarIT7_EEPKT2_PKS2_PKT4_PKT5_llS5_PT6_ll16rocsparse_order_21rocsparse_index_base_b
                                        ; -- End function
	.set _ZN9rocsparseL29bsrmmnt_small_blockdim_kernelILj64ELj16ELj2EiiaaffEEv20rocsparse_direction_T3_S2_llNS_24const_host_device_scalarIT7_EEPKT2_PKS2_PKT4_PKT5_llS5_PT6_ll16rocsparse_order_21rocsparse_index_base_b.num_vgpr, 32
	.set _ZN9rocsparseL29bsrmmnt_small_blockdim_kernelILj64ELj16ELj2EiiaaffEEv20rocsparse_direction_T3_S2_llNS_24const_host_device_scalarIT7_EEPKT2_PKS2_PKT4_PKT5_llS5_PT6_ll16rocsparse_order_21rocsparse_index_base_b.num_agpr, 0
	.set _ZN9rocsparseL29bsrmmnt_small_blockdim_kernelILj64ELj16ELj2EiiaaffEEv20rocsparse_direction_T3_S2_llNS_24const_host_device_scalarIT7_EEPKT2_PKS2_PKT4_PKT5_llS5_PT6_ll16rocsparse_order_21rocsparse_index_base_b.numbered_sgpr, 26
	.set _ZN9rocsparseL29bsrmmnt_small_blockdim_kernelILj64ELj16ELj2EiiaaffEEv20rocsparse_direction_T3_S2_llNS_24const_host_device_scalarIT7_EEPKT2_PKS2_PKT4_PKT5_llS5_PT6_ll16rocsparse_order_21rocsparse_index_base_b.num_named_barrier, 0
	.set _ZN9rocsparseL29bsrmmnt_small_blockdim_kernelILj64ELj16ELj2EiiaaffEEv20rocsparse_direction_T3_S2_llNS_24const_host_device_scalarIT7_EEPKT2_PKS2_PKT4_PKT5_llS5_PT6_ll16rocsparse_order_21rocsparse_index_base_b.private_seg_size, 0
	.set _ZN9rocsparseL29bsrmmnt_small_blockdim_kernelILj64ELj16ELj2EiiaaffEEv20rocsparse_direction_T3_S2_llNS_24const_host_device_scalarIT7_EEPKT2_PKS2_PKT4_PKT5_llS5_PT6_ll16rocsparse_order_21rocsparse_index_base_b.uses_vcc, 1
	.set _ZN9rocsparseL29bsrmmnt_small_blockdim_kernelILj64ELj16ELj2EiiaaffEEv20rocsparse_direction_T3_S2_llNS_24const_host_device_scalarIT7_EEPKT2_PKS2_PKT4_PKT5_llS5_PT6_ll16rocsparse_order_21rocsparse_index_base_b.uses_flat_scratch, 0
	.set _ZN9rocsparseL29bsrmmnt_small_blockdim_kernelILj64ELj16ELj2EiiaaffEEv20rocsparse_direction_T3_S2_llNS_24const_host_device_scalarIT7_EEPKT2_PKS2_PKT4_PKT5_llS5_PT6_ll16rocsparse_order_21rocsparse_index_base_b.has_dyn_sized_stack, 0
	.set _ZN9rocsparseL29bsrmmnt_small_blockdim_kernelILj64ELj16ELj2EiiaaffEEv20rocsparse_direction_T3_S2_llNS_24const_host_device_scalarIT7_EEPKT2_PKS2_PKT4_PKT5_llS5_PT6_ll16rocsparse_order_21rocsparse_index_base_b.has_recursion, 0
	.set _ZN9rocsparseL29bsrmmnt_small_blockdim_kernelILj64ELj16ELj2EiiaaffEEv20rocsparse_direction_T3_S2_llNS_24const_host_device_scalarIT7_EEPKT2_PKS2_PKT4_PKT5_llS5_PT6_ll16rocsparse_order_21rocsparse_index_base_b.has_indirect_call, 0
	.section	.AMDGPU.csdata,"",@progbits
; Kernel info:
; codeLenInByte = 1396
; TotalNumSgprs: 28
; NumVgprs: 32
; ScratchSize: 0
; MemoryBound: 0
; FloatMode: 240
; IeeeMode: 1
; LDSByteSize: 448 bytes/workgroup (compile time only)
; SGPRBlocks: 0
; VGPRBlocks: 1
; NumSGPRsForWavesPerEU: 28
; NumVGPRsForWavesPerEU: 32
; NamedBarCnt: 0
; Occupancy: 16
; WaveLimiterHint : 0
; COMPUTE_PGM_RSRC2:SCRATCH_EN: 0
; COMPUTE_PGM_RSRC2:USER_SGPR: 2
; COMPUTE_PGM_RSRC2:TRAP_HANDLER: 0
; COMPUTE_PGM_RSRC2:TGID_X_EN: 1
; COMPUTE_PGM_RSRC2:TGID_Y_EN: 0
; COMPUTE_PGM_RSRC2:TGID_Z_EN: 0
; COMPUTE_PGM_RSRC2:TIDIG_COMP_CNT: 0
	.section	.text._ZN9rocsparseL29bsrmmnt_small_blockdim_kernelILj64ELj32ELj2EiiaaffEEv20rocsparse_direction_T3_S2_llNS_24const_host_device_scalarIT7_EEPKT2_PKS2_PKT4_PKT5_llS5_PT6_ll16rocsparse_order_21rocsparse_index_base_b,"axG",@progbits,_ZN9rocsparseL29bsrmmnt_small_blockdim_kernelILj64ELj32ELj2EiiaaffEEv20rocsparse_direction_T3_S2_llNS_24const_host_device_scalarIT7_EEPKT2_PKS2_PKT4_PKT5_llS5_PT6_ll16rocsparse_order_21rocsparse_index_base_b,comdat
	.globl	_ZN9rocsparseL29bsrmmnt_small_blockdim_kernelILj64ELj32ELj2EiiaaffEEv20rocsparse_direction_T3_S2_llNS_24const_host_device_scalarIT7_EEPKT2_PKS2_PKT4_PKT5_llS5_PT6_ll16rocsparse_order_21rocsparse_index_base_b ; -- Begin function _ZN9rocsparseL29bsrmmnt_small_blockdim_kernelILj64ELj32ELj2EiiaaffEEv20rocsparse_direction_T3_S2_llNS_24const_host_device_scalarIT7_EEPKT2_PKS2_PKT4_PKT5_llS5_PT6_ll16rocsparse_order_21rocsparse_index_base_b
	.p2align	8
	.type	_ZN9rocsparseL29bsrmmnt_small_blockdim_kernelILj64ELj32ELj2EiiaaffEEv20rocsparse_direction_T3_S2_llNS_24const_host_device_scalarIT7_EEPKT2_PKS2_PKT4_PKT5_llS5_PT6_ll16rocsparse_order_21rocsparse_index_base_b,@function
_ZN9rocsparseL29bsrmmnt_small_blockdim_kernelILj64ELj32ELj2EiiaaffEEv20rocsparse_direction_T3_S2_llNS_24const_host_device_scalarIT7_EEPKT2_PKS2_PKT4_PKT5_llS5_PT6_ll16rocsparse_order_21rocsparse_index_base_b: ; @_ZN9rocsparseL29bsrmmnt_small_blockdim_kernelILj64ELj32ELj2EiiaaffEEv20rocsparse_direction_T3_S2_llNS_24const_host_device_scalarIT7_EEPKT2_PKS2_PKT4_PKT5_llS5_PT6_ll16rocsparse_order_21rocsparse_index_base_b
; %bb.0:
	s_clause 0x2
	s_load_b96 s[16:18], s[0:1], 0x78
	s_load_b64 s[2:3], s[0:1], 0x20
	s_load_b64 s[24:25], s[0:1], 0x58
	s_wait_kmcnt 0x0
	s_bitcmp1_b32 s18, 0
	s_cselect_b32 s4, -1, 0
	s_delay_alu instid0(SALU_CYCLE_1)
	s_and_b32 vcc_lo, exec_lo, s4
	s_xor_b32 s4, s4, -1
	s_cbranch_vccnz .LBB95_2
; %bb.1:
	s_load_b32 s2, s[2:3], 0x0
.LBB95_2:
	s_and_not1_b32 vcc_lo, exec_lo, s4
	s_cbranch_vccnz .LBB95_4
; %bb.3:
	s_load_b32 s24, s[24:25], 0x0
.LBB95_4:
	s_wait_kmcnt 0x0
	s_cmp_eq_f32 s2, 0
	s_cselect_b32 s3, -1, 0
	s_cmp_eq_f32 s24, 1.0
	s_cselect_b32 s4, -1, 0
	s_delay_alu instid0(SALU_CYCLE_1) | instskip(NEXT) | instid1(SALU_CYCLE_1)
	s_and_b32 s3, s3, s4
	s_and_b32 vcc_lo, exec_lo, s3
	s_cbranch_vccnz .LBB95_30
; %bb.5:
	s_clause 0x1
	s_load_b32 s3, s[0:1], 0x94
	s_load_b96 s[20:22], s[0:1], 0x0
	s_bfe_u32 s4, ttmp6, 0x4000c
	s_and_b32 s5, ttmp6, 15
	s_add_co_i32 s4, s4, 1
	s_getreg_b32 s6, hwreg(HW_REG_IB_STS2, 6, 4)
	s_mul_i32 s4, ttmp9, s4
	s_delay_alu instid0(SALU_CYCLE_1) | instskip(SKIP_4) | instid1(SALU_CYCLE_1)
	s_add_co_i32 s5, s5, s4
	s_wait_kmcnt 0x0
	s_and_b32 s3, s3, 0xffff
	s_cmp_eq_u32 s6, 0
	s_cselect_b32 s4, ttmp9, s5
	v_mad_u32 v1, s4, s3, v0
	s_mov_b32 s3, exec_lo
	s_delay_alu instid0(VALU_DEP_1) | instskip(NEXT) | instid1(VALU_DEP_1)
	v_lshrrev_b32_e32 v2, 6, v1
	v_cmpx_gt_i32_e64 s21, v2
	s_cbranch_execz .LBB95_30
; %bb.6:
	s_cmp_lt_i32 s22, 1
	s_cbranch_scc1 .LBB95_30
; %bb.7:
	s_load_b256 s[4:11], s[0:1], 0x28
	v_dual_mov_b32 v3, 0 :: v_dual_lshlrev_b32 v2, 2, v2
	s_load_b128 s[12:15], s[0:1], 0x60
	s_cmp_eq_u32 s20, 0
	v_and_b32_e32 v8, 31, v0
	s_cselect_b32 vcc_lo, -1, 0
	s_cmp_neq_f32 s24, 0
	s_delay_alu instid0(VALU_DEP_1)
	v_mul_u32_u24_e32 v16, 3, v8
	s_cselect_b32 s3, -1, 0
	s_cmp_lg_u32 s16, 1
	s_wait_kmcnt 0x0
	global_load_b64 v[4:5], v2, s[4:5]
	s_wait_xcnt 0x0
	v_lshrrev_b32_e32 v2, 5, v1
	s_load_b64 s[4:5], s[0:1], 0x48
	v_bfe_u32 v1, v1, 5, 1
	v_lshrrev_b32_e32 v0, 5, v0
	s_delay_alu instid0(VALU_DEP_3) | instskip(NEXT) | instid1(VALU_DEP_3)
	v_mul_u64_e32 v[6:7], s[14:15], v[2:3]
	v_dual_lshlrev_b32 v2, 2, v2 :: v_dual_bitop2_b32 v13, 2, v1 bitop3:0x54
	s_delay_alu instid0(VALU_DEP_3) | instskip(SKIP_1) | instid1(VALU_DEP_2)
	v_dual_lshlrev_b32 v12, 1, v1 :: v_dual_lshlrev_b32 v9, 7, v0
	v_mul_u32_u24_e32 v0, 0x60, v0
	v_dual_cndmask_b32 v12, v1, v12, vcc_lo :: v_dual_bitop2_b32 v14, 1, v12 bitop3:0x54
	s_delay_alu instid0(VALU_DEP_2) | instskip(SKIP_2) | instid1(VALU_DEP_3)
	v_or_b32_e32 v11, 0x100, v0
	v_add_nc_u64_e32 v[0:1], s[12:13], v[2:3]
	v_lshl_or_b32 v10, v8, 2, v9
	v_dual_cndmask_b32 v13, v13, v14 :: v_dual_add_nc_u32 v16, v11, v16
	v_lshl_add_u64 v[2:3], v[6:7], 2, s[12:13]
	s_mov_b32 s12, 0
	s_cselect_b32 s13, -1, 0
	s_wait_loadcnt 0x0
	v_subrev_nc_u32_e32 v14, s17, v4
	v_subrev_nc_u32_e32 v15, s17, v5
	s_wait_xcnt 0x0
	v_cmp_lt_i32_e64 s0, v4, v5
	s_branch .LBB95_9
.LBB95_8:                               ;   in Loop: Header=BB95_9 Depth=1
	s_wait_xcnt 0x0
	s_or_b32 exec_lo, exec_lo, s1
	s_add_co_i32 s12, s12, 32
	s_delay_alu instid0(SALU_CYCLE_1)
	s_cmp_lt_i32 s12, s22
	s_cbranch_scc0 .LBB95_30
.LBB95_9:                               ; =>This Loop Header: Depth=1
                                        ;     Child Loop BB95_12 Depth 2
                                        ;       Child Loop BB95_16 Depth 3
	v_dual_mov_b32 v17, 0 :: v_dual_bitop2_b32 v4, s12, v8 bitop3:0x54
	s_delay_alu instid0(VALU_DEP_1) | instskip(NEXT) | instid1(VALU_DEP_3)
	v_ashrrev_i32_e32 v5, 31, v4
	s_and_saveexec_b32 s16, s0
	s_cbranch_execz .LBB95_18
; %bb.10:                               ;   in Loop: Header=BB95_9 Depth=1
	s_delay_alu instid0(VALU_DEP_1)
	v_add_nc_u64_e32 v[6:7], s[10:11], v[4:5]
	v_dual_mov_b32 v17, 0 :: v_dual_mov_b32 v18, v14
	s_mov_b32 s18, 0
	v_cmp_gt_i32_e32 vcc_lo, s22, v4
	s_branch .LBB95_12
.LBB95_11:                              ;   in Loop: Header=BB95_12 Depth=2
	s_wait_xcnt 0x0
	s_or_b32 exec_lo, exec_lo, s1
	v_add_nc_u32_e32 v18, 32, v18
	s_delay_alu instid0(VALU_DEP_1) | instskip(SKIP_1) | instid1(SALU_CYCLE_1)
	v_cmp_ge_i32_e64 s1, v18, v15
	s_or_b32 s18, s1, s18
	s_and_not1_b32 exec_lo, exec_lo, s18
	s_cbranch_execz .LBB95_17
.LBB95_12:                              ;   Parent Loop BB95_9 Depth=1
                                        ; =>  This Loop Header: Depth=2
                                        ;       Child Loop BB95_16 Depth 3
	s_delay_alu instid0(VALU_DEP_2) | instskip(SKIP_2) | instid1(VALU_DEP_2)
	v_dual_mov_b32 v21, 0 :: v_dual_add_nc_u32 v22, v18, v8
	v_dual_mov_b32 v19, 0 :: v_dual_mov_b32 v20, 0
	s_mov_b32 s19, exec_lo
	v_cmpx_lt_i32_e64 v22, v15
	s_cbranch_execz .LBB95_14
; %bb.13:                               ;   in Loop: Header=BB95_12 Depth=2
	global_load_b32 v21, v22, s[6:7] scale_offset
	s_wait_loadcnt 0x0
	v_subrev_nc_u32_e32 v21, s17, v21
	s_delay_alu instid0(VALU_DEP_1) | instskip(SKIP_1) | instid1(VALU_DEP_1)
	v_dual_lshlrev_b32 v19, 2, v22 :: v_dual_lshlrev_b32 v21, 1, v21
	s_wait_xcnt 0x0
	v_or_b32_e32 v22, v19, v12
	v_or_b32_e32 v23, v19, v13
	s_clause 0x1
	global_load_u8 v19, v22, s[8:9]
	global_load_u8 v20, v23, s[8:9]
.LBB95_14:                              ;   in Loop: Header=BB95_12 Depth=2
	s_wait_xcnt 0x0
	s_or_b32 exec_lo, exec_lo, s19
	ds_store_b32 v10, v21
	s_wait_loadcnt 0x1
	ds_store_b8 v16, v19
	s_wait_loadcnt 0x0
	ds_store_b8 v16, v20 offset:1
	s_wait_dscnt 0x0
	s_barrier_signal -1
	s_barrier_wait -1
	s_and_saveexec_b32 s1, vcc_lo
	s_cbranch_execz .LBB95_11
; %bb.15:                               ;   in Loop: Header=BB95_12 Depth=2
	v_mov_b32_e32 v19, v11
	s_mov_b32 s19, 0
.LBB95_16:                              ;   Parent Loop BB95_9 Depth=1
                                        ;     Parent Loop BB95_12 Depth=2
                                        ; =>    This Inner Loop Header: Depth=3
	s_delay_alu instid0(SALU_CYCLE_1) | instskip(SKIP_1) | instid1(SALU_CYCLE_1)
	v_add_nc_u32_e32 v20, s19, v9
	s_add_co_i32 s19, s19, 8
	s_cmp_lg_u32 s19, 0x80
	ds_load_b64 v[20:21], v20
	s_wait_dscnt 0x0
	s_wait_kmcnt 0x0
	v_mad_nc_u64_u32 v[22:23], s4, v20, v[6:7]
	v_dual_add_nc_u32 v30, 1, v20 :: v_dual_add_nc_u32 v31, 1, v21
	v_mad_nc_u64_u32 v[26:27], s4, v21, v[6:7]
	s_delay_alu instid0(VALU_DEP_2) | instskip(SKIP_1) | instid1(VALU_DEP_3)
	v_mad_nc_u64_u32 v[24:25], s4, v30, v[6:7]
	s_wait_xcnt 0x0
	v_mad_nc_u64_u32 v[28:29], s4, v31, v[6:7]
	v_mad_u32 v23, s5, v20, v23
	v_ashrrev_i32_e32 v20, 31, v20
	v_mad_u32 v27, s5, v21, v27
	v_mad_u32 v25, s5, v30, v25
	v_ashrrev_i32_e32 v30, 31, v30
	s_delay_alu instid0(VALU_DEP_4) | instskip(SKIP_4) | instid1(VALU_DEP_4)
	v_mad_u32 v23, s4, v20, v23
	v_ashrrev_i32_e32 v20, 31, v21
	v_mad_u32 v21, s5, v31, v29
	v_ashrrev_i32_e32 v29, 31, v31
	v_mad_u32 v25, s4, v30, v25
	v_mad_u32 v27, s4, v20, v27
	global_load_i8 v20, v[22:23], off
	v_mad_u32 v29, s4, v29, v21
	s_clause 0x2
	global_load_i8 v21, v[24:25], off
	global_load_i8 v22, v[26:27], off
	;; [unrolled: 1-line block ×3, first 2 shown]
	s_wait_xcnt 0x2
	ds_load_u16 v24, v19
	ds_load_i8 v25, v19 offset:3
	s_wait_xcnt 0x1
	ds_load_i8 v26, v19 offset:4
	v_add_nc_u32_e32 v19, 6, v19
	s_wait_dscnt 0x2
	v_bfe_i32 v27, v24, 0, 8
	v_ashrrev_i16 v24, 8, v24
	s_delay_alu instid0(VALU_DEP_2) | instskip(NEXT) | instid1(VALU_DEP_2)
	v_bfe_i32 v27, v27, 0, 16
	v_bfe_i32 v24, v24, 0, 16
	s_delay_alu instid0(VALU_DEP_2) | instskip(NEXT) | instid1(VALU_DEP_2)
	v_cvt_f32_i32_e32 v27, v27
	v_cvt_f32_i32_e32 v24, v24
	s_wait_loadcnt 0x3
	v_cvt_f32_i32_e32 v20, v20
	s_delay_alu instid0(VALU_DEP_1)
	v_fmac_f32_e32 v17, v27, v20
	s_wait_loadcnt 0x2
	v_cvt_f32_i32_e32 v20, v21
	s_wait_dscnt 0x1
	v_cvt_f32_i32_e32 v21, v25
	s_wait_loadcnt 0x1
	v_cvt_f32_i32_e32 v22, v22
	s_wait_loadcnt 0x0
	v_cvt_f32_i32_e32 v23, v23
	v_fmac_f32_e32 v17, v24, v20
	s_wait_dscnt 0x0
	v_cvt_f32_i32_e32 v20, v26
	s_delay_alu instid0(VALU_DEP_2) | instskip(NEXT) | instid1(VALU_DEP_1)
	v_fmac_f32_e32 v17, v21, v22
	v_fmac_f32_e32 v17, v20, v23
	s_cbranch_scc1 .LBB95_16
	s_branch .LBB95_11
.LBB95_17:                              ;   in Loop: Header=BB95_9 Depth=1
	s_or_b32 exec_lo, exec_lo, s18
.LBB95_18:                              ;   in Loop: Header=BB95_9 Depth=1
	s_delay_alu instid0(SALU_CYCLE_1) | instskip(NEXT) | instid1(SALU_CYCLE_1)
	s_or_b32 exec_lo, exec_lo, s16
	s_mov_b32 s1, exec_lo
	v_cmpx_gt_i32_e64 s22, v4
	s_cbranch_execz .LBB95_8
; %bb.19:                               ;   in Loop: Header=BB95_9 Depth=1
	s_and_b32 vcc_lo, exec_lo, s3
	s_cbranch_vccz .LBB95_25
; %bb.20:                               ;   in Loop: Header=BB95_9 Depth=1
	s_and_b32 vcc_lo, exec_lo, s13
	s_mov_b32 s16, -1
	s_cbranch_vccz .LBB95_22
; %bb.21:                               ;   in Loop: Header=BB95_9 Depth=1
	v_lshl_add_u64 v[6:7], v[4:5], 2, v[2:3]
	v_mul_f32_e32 v19, s2, v17
	s_mov_b32 s16, 0
	global_load_b32 v18, v[6:7], off
	s_wait_loadcnt 0x0
	v_fmac_f32_e32 v19, s24, v18
	global_store_b32 v[6:7], v19, off
.LBB95_22:                              ;   in Loop: Header=BB95_9 Depth=1
	s_and_not1_b32 vcc_lo, exec_lo, s16
	s_cbranch_vccnz .LBB95_24
; %bb.23:                               ;   in Loop: Header=BB95_9 Depth=1
	s_wait_xcnt 0x0
	v_mul_u64_e32 v[6:7], s[14:15], v[4:5]
	v_mul_f32_e32 v19, s2, v17
	s_delay_alu instid0(VALU_DEP_2)
	v_lshl_add_u64 v[6:7], v[6:7], 2, v[0:1]
	global_load_b32 v18, v[6:7], off
	s_wait_loadcnt 0x0
	v_fmac_f32_e32 v19, s24, v18
	global_store_b32 v[6:7], v19, off
.LBB95_24:                              ;   in Loop: Header=BB95_9 Depth=1
	s_cbranch_execnz .LBB95_8
	s_branch .LBB95_26
.LBB95_25:                              ;   in Loop: Header=BB95_9 Depth=1
.LBB95_26:                              ;   in Loop: Header=BB95_9 Depth=1
	s_wait_xcnt 0x0
	v_mul_f32_e32 v6, s2, v17
	s_and_b32 vcc_lo, exec_lo, s13
	s_mov_b32 s16, -1
	s_cbranch_vccz .LBB95_28
; %bb.27:                               ;   in Loop: Header=BB95_9 Depth=1
	v_lshl_add_u64 v[18:19], v[4:5], 2, v[2:3]
	s_mov_b32 s16, 0
	global_store_b32 v[18:19], v6, off
.LBB95_28:                              ;   in Loop: Header=BB95_9 Depth=1
	s_and_not1_b32 vcc_lo, exec_lo, s16
	s_cbranch_vccnz .LBB95_8
; %bb.29:                               ;   in Loop: Header=BB95_9 Depth=1
	v_mul_u64_e32 v[4:5], s[14:15], v[4:5]
	s_delay_alu instid0(VALU_DEP_1)
	v_lshl_add_u64 v[4:5], v[4:5], 2, v[0:1]
	global_store_b32 v[4:5], v6, off
	s_branch .LBB95_8
.LBB95_30:
	s_endpgm
	.section	.rodata,"a",@progbits
	.p2align	6, 0x0
	.amdhsa_kernel _ZN9rocsparseL29bsrmmnt_small_blockdim_kernelILj64ELj32ELj2EiiaaffEEv20rocsparse_direction_T3_S2_llNS_24const_host_device_scalarIT7_EEPKT2_PKS2_PKT4_PKT5_llS5_PT6_ll16rocsparse_order_21rocsparse_index_base_b
		.amdhsa_group_segment_fixed_size 448
		.amdhsa_private_segment_fixed_size 0
		.amdhsa_kernarg_size 392
		.amdhsa_user_sgpr_count 2
		.amdhsa_user_sgpr_dispatch_ptr 0
		.amdhsa_user_sgpr_queue_ptr 0
		.amdhsa_user_sgpr_kernarg_segment_ptr 1
		.amdhsa_user_sgpr_dispatch_id 0
		.amdhsa_user_sgpr_kernarg_preload_length 0
		.amdhsa_user_sgpr_kernarg_preload_offset 0
		.amdhsa_user_sgpr_private_segment_size 0
		.amdhsa_wavefront_size32 1
		.amdhsa_uses_dynamic_stack 0
		.amdhsa_enable_private_segment 0
		.amdhsa_system_sgpr_workgroup_id_x 1
		.amdhsa_system_sgpr_workgroup_id_y 0
		.amdhsa_system_sgpr_workgroup_id_z 0
		.amdhsa_system_sgpr_workgroup_info 0
		.amdhsa_system_vgpr_workitem_id 0
		.amdhsa_next_free_vgpr 32
		.amdhsa_next_free_sgpr 26
		.amdhsa_named_barrier_count 0
		.amdhsa_reserve_vcc 1
		.amdhsa_float_round_mode_32 0
		.amdhsa_float_round_mode_16_64 0
		.amdhsa_float_denorm_mode_32 3
		.amdhsa_float_denorm_mode_16_64 3
		.amdhsa_fp16_overflow 0
		.amdhsa_memory_ordered 1
		.amdhsa_forward_progress 1
		.amdhsa_inst_pref_size 11
		.amdhsa_round_robin_scheduling 0
		.amdhsa_exception_fp_ieee_invalid_op 0
		.amdhsa_exception_fp_denorm_src 0
		.amdhsa_exception_fp_ieee_div_zero 0
		.amdhsa_exception_fp_ieee_overflow 0
		.amdhsa_exception_fp_ieee_underflow 0
		.amdhsa_exception_fp_ieee_inexact 0
		.amdhsa_exception_int_div_zero 0
	.end_amdhsa_kernel
	.section	.text._ZN9rocsparseL29bsrmmnt_small_blockdim_kernelILj64ELj32ELj2EiiaaffEEv20rocsparse_direction_T3_S2_llNS_24const_host_device_scalarIT7_EEPKT2_PKS2_PKT4_PKT5_llS5_PT6_ll16rocsparse_order_21rocsparse_index_base_b,"axG",@progbits,_ZN9rocsparseL29bsrmmnt_small_blockdim_kernelILj64ELj32ELj2EiiaaffEEv20rocsparse_direction_T3_S2_llNS_24const_host_device_scalarIT7_EEPKT2_PKS2_PKT4_PKT5_llS5_PT6_ll16rocsparse_order_21rocsparse_index_base_b,comdat
.Lfunc_end95:
	.size	_ZN9rocsparseL29bsrmmnt_small_blockdim_kernelILj64ELj32ELj2EiiaaffEEv20rocsparse_direction_T3_S2_llNS_24const_host_device_scalarIT7_EEPKT2_PKS2_PKT4_PKT5_llS5_PT6_ll16rocsparse_order_21rocsparse_index_base_b, .Lfunc_end95-_ZN9rocsparseL29bsrmmnt_small_blockdim_kernelILj64ELj32ELj2EiiaaffEEv20rocsparse_direction_T3_S2_llNS_24const_host_device_scalarIT7_EEPKT2_PKS2_PKT4_PKT5_llS5_PT6_ll16rocsparse_order_21rocsparse_index_base_b
                                        ; -- End function
	.set _ZN9rocsparseL29bsrmmnt_small_blockdim_kernelILj64ELj32ELj2EiiaaffEEv20rocsparse_direction_T3_S2_llNS_24const_host_device_scalarIT7_EEPKT2_PKS2_PKT4_PKT5_llS5_PT6_ll16rocsparse_order_21rocsparse_index_base_b.num_vgpr, 32
	.set _ZN9rocsparseL29bsrmmnt_small_blockdim_kernelILj64ELj32ELj2EiiaaffEEv20rocsparse_direction_T3_S2_llNS_24const_host_device_scalarIT7_EEPKT2_PKS2_PKT4_PKT5_llS5_PT6_ll16rocsparse_order_21rocsparse_index_base_b.num_agpr, 0
	.set _ZN9rocsparseL29bsrmmnt_small_blockdim_kernelILj64ELj32ELj2EiiaaffEEv20rocsparse_direction_T3_S2_llNS_24const_host_device_scalarIT7_EEPKT2_PKS2_PKT4_PKT5_llS5_PT6_ll16rocsparse_order_21rocsparse_index_base_b.numbered_sgpr, 26
	.set _ZN9rocsparseL29bsrmmnt_small_blockdim_kernelILj64ELj32ELj2EiiaaffEEv20rocsparse_direction_T3_S2_llNS_24const_host_device_scalarIT7_EEPKT2_PKS2_PKT4_PKT5_llS5_PT6_ll16rocsparse_order_21rocsparse_index_base_b.num_named_barrier, 0
	.set _ZN9rocsparseL29bsrmmnt_small_blockdim_kernelILj64ELj32ELj2EiiaaffEEv20rocsparse_direction_T3_S2_llNS_24const_host_device_scalarIT7_EEPKT2_PKS2_PKT4_PKT5_llS5_PT6_ll16rocsparse_order_21rocsparse_index_base_b.private_seg_size, 0
	.set _ZN9rocsparseL29bsrmmnt_small_blockdim_kernelILj64ELj32ELj2EiiaaffEEv20rocsparse_direction_T3_S2_llNS_24const_host_device_scalarIT7_EEPKT2_PKS2_PKT4_PKT5_llS5_PT6_ll16rocsparse_order_21rocsparse_index_base_b.uses_vcc, 1
	.set _ZN9rocsparseL29bsrmmnt_small_blockdim_kernelILj64ELj32ELj2EiiaaffEEv20rocsparse_direction_T3_S2_llNS_24const_host_device_scalarIT7_EEPKT2_PKS2_PKT4_PKT5_llS5_PT6_ll16rocsparse_order_21rocsparse_index_base_b.uses_flat_scratch, 0
	.set _ZN9rocsparseL29bsrmmnt_small_blockdim_kernelILj64ELj32ELj2EiiaaffEEv20rocsparse_direction_T3_S2_llNS_24const_host_device_scalarIT7_EEPKT2_PKS2_PKT4_PKT5_llS5_PT6_ll16rocsparse_order_21rocsparse_index_base_b.has_dyn_sized_stack, 0
	.set _ZN9rocsparseL29bsrmmnt_small_blockdim_kernelILj64ELj32ELj2EiiaaffEEv20rocsparse_direction_T3_S2_llNS_24const_host_device_scalarIT7_EEPKT2_PKS2_PKT4_PKT5_llS5_PT6_ll16rocsparse_order_21rocsparse_index_base_b.has_recursion, 0
	.set _ZN9rocsparseL29bsrmmnt_small_blockdim_kernelILj64ELj32ELj2EiiaaffEEv20rocsparse_direction_T3_S2_llNS_24const_host_device_scalarIT7_EEPKT2_PKS2_PKT4_PKT5_llS5_PT6_ll16rocsparse_order_21rocsparse_index_base_b.has_indirect_call, 0
	.section	.AMDGPU.csdata,"",@progbits
; Kernel info:
; codeLenInByte = 1404
; TotalNumSgprs: 28
; NumVgprs: 32
; ScratchSize: 0
; MemoryBound: 0
; FloatMode: 240
; IeeeMode: 1
; LDSByteSize: 448 bytes/workgroup (compile time only)
; SGPRBlocks: 0
; VGPRBlocks: 1
; NumSGPRsForWavesPerEU: 28
; NumVGPRsForWavesPerEU: 32
; NamedBarCnt: 0
; Occupancy: 16
; WaveLimiterHint : 0
; COMPUTE_PGM_RSRC2:SCRATCH_EN: 0
; COMPUTE_PGM_RSRC2:USER_SGPR: 2
; COMPUTE_PGM_RSRC2:TRAP_HANDLER: 0
; COMPUTE_PGM_RSRC2:TGID_X_EN: 1
; COMPUTE_PGM_RSRC2:TGID_Y_EN: 0
; COMPUTE_PGM_RSRC2:TGID_Z_EN: 0
; COMPUTE_PGM_RSRC2:TIDIG_COMP_CNT: 0
	.section	.text._ZN9rocsparseL29bsrmmnt_small_blockdim_kernelILj64ELj64ELj2EiiaaffEEv20rocsparse_direction_T3_S2_llNS_24const_host_device_scalarIT7_EEPKT2_PKS2_PKT4_PKT5_llS5_PT6_ll16rocsparse_order_21rocsparse_index_base_b,"axG",@progbits,_ZN9rocsparseL29bsrmmnt_small_blockdim_kernelILj64ELj64ELj2EiiaaffEEv20rocsparse_direction_T3_S2_llNS_24const_host_device_scalarIT7_EEPKT2_PKS2_PKT4_PKT5_llS5_PT6_ll16rocsparse_order_21rocsparse_index_base_b,comdat
	.globl	_ZN9rocsparseL29bsrmmnt_small_blockdim_kernelILj64ELj64ELj2EiiaaffEEv20rocsparse_direction_T3_S2_llNS_24const_host_device_scalarIT7_EEPKT2_PKS2_PKT4_PKT5_llS5_PT6_ll16rocsparse_order_21rocsparse_index_base_b ; -- Begin function _ZN9rocsparseL29bsrmmnt_small_blockdim_kernelILj64ELj64ELj2EiiaaffEEv20rocsparse_direction_T3_S2_llNS_24const_host_device_scalarIT7_EEPKT2_PKS2_PKT4_PKT5_llS5_PT6_ll16rocsparse_order_21rocsparse_index_base_b
	.p2align	8
	.type	_ZN9rocsparseL29bsrmmnt_small_blockdim_kernelILj64ELj64ELj2EiiaaffEEv20rocsparse_direction_T3_S2_llNS_24const_host_device_scalarIT7_EEPKT2_PKS2_PKT4_PKT5_llS5_PT6_ll16rocsparse_order_21rocsparse_index_base_b,@function
_ZN9rocsparseL29bsrmmnt_small_blockdim_kernelILj64ELj64ELj2EiiaaffEEv20rocsparse_direction_T3_S2_llNS_24const_host_device_scalarIT7_EEPKT2_PKS2_PKT4_PKT5_llS5_PT6_ll16rocsparse_order_21rocsparse_index_base_b: ; @_ZN9rocsparseL29bsrmmnt_small_blockdim_kernelILj64ELj64ELj2EiiaaffEEv20rocsparse_direction_T3_S2_llNS_24const_host_device_scalarIT7_EEPKT2_PKS2_PKT4_PKT5_llS5_PT6_ll16rocsparse_order_21rocsparse_index_base_b
; %bb.0:
	s_clause 0x2
	s_load_b96 s[16:18], s[0:1], 0x78
	s_load_b64 s[2:3], s[0:1], 0x20
	s_load_b64 s[24:25], s[0:1], 0x58
	s_wait_kmcnt 0x0
	s_bitcmp1_b32 s18, 0
	s_cselect_b32 s4, -1, 0
	s_delay_alu instid0(SALU_CYCLE_1)
	s_and_b32 vcc_lo, exec_lo, s4
	s_xor_b32 s4, s4, -1
	s_cbranch_vccnz .LBB96_2
; %bb.1:
	s_load_b32 s2, s[2:3], 0x0
.LBB96_2:
	s_and_not1_b32 vcc_lo, exec_lo, s4
	s_cbranch_vccnz .LBB96_4
; %bb.3:
	s_load_b32 s24, s[24:25], 0x0
.LBB96_4:
	s_wait_kmcnt 0x0
	s_cmp_eq_f32 s2, 0
	s_cselect_b32 s3, -1, 0
	s_cmp_eq_f32 s24, 1.0
	s_cselect_b32 s4, -1, 0
	s_delay_alu instid0(SALU_CYCLE_1) | instskip(NEXT) | instid1(SALU_CYCLE_1)
	s_and_b32 s3, s3, s4
	s_and_b32 vcc_lo, exec_lo, s3
	s_cbranch_vccnz .LBB96_30
; %bb.5:
	s_clause 0x1
	s_load_b32 s3, s[0:1], 0x94
	s_load_b96 s[20:22], s[0:1], 0x0
	s_bfe_u32 s4, ttmp6, 0x4000c
	s_and_b32 s5, ttmp6, 15
	s_add_co_i32 s4, s4, 1
	s_getreg_b32 s6, hwreg(HW_REG_IB_STS2, 6, 4)
	s_mul_i32 s4, ttmp9, s4
	s_delay_alu instid0(SALU_CYCLE_1) | instskip(SKIP_4) | instid1(SALU_CYCLE_1)
	s_add_co_i32 s5, s5, s4
	s_wait_kmcnt 0x0
	s_and_b32 s3, s3, 0xffff
	s_cmp_eq_u32 s6, 0
	s_cselect_b32 s4, ttmp9, s5
	v_mad_u32 v1, s4, s3, v0
	s_mov_b32 s3, exec_lo
	s_delay_alu instid0(VALU_DEP_1) | instskip(NEXT) | instid1(VALU_DEP_1)
	v_lshrrev_b32_e32 v2, 7, v1
	v_cmpx_gt_i32_e64 s21, v2
	s_cbranch_execz .LBB96_30
; %bb.6:
	s_cmp_lt_i32 s22, 1
	s_cbranch_scc1 .LBB96_30
; %bb.7:
	s_load_b256 s[4:11], s[0:1], 0x28
	v_dual_mov_b32 v3, 0 :: v_dual_lshlrev_b32 v2, 2, v2
	s_load_b128 s[12:15], s[0:1], 0x60
	v_bfe_u32 v8, v1, 6, 1
	s_cmp_eq_u32 s20, 0
	v_mul_u32_u24_e32 v14, 3, v0
	s_cselect_b32 vcc_lo, -1, 0
	s_cmp_neq_f32 s24, 0
	v_dual_lshlrev_b32 v9, 1, v8 :: v_dual_bitop2_b32 v11, 2, v8 bitop3:0x54
	s_delay_alu instid0(VALU_DEP_2)
	v_add_nc_u32_e32 v14, 0x100, v14
	s_cselect_b32 s3, -1, 0
	s_cmp_lg_u32 s16, 1
	s_wait_kmcnt 0x0
	global_load_b64 v[6:7], v2, s[4:5]
	s_wait_xcnt 0x0
	v_dual_lshrrev_b32 v2, 6, v1 :: v_dual_lshlrev_b32 v1, 2, v0
	s_load_b64 s[4:5], s[0:1], 0x48
	v_or_b32_e32 v12, 1, v9
	s_delay_alu instid0(VALU_DEP_2) | instskip(SKIP_1) | instid1(VALU_DEP_3)
	v_mul_u64_e32 v[4:5], s[14:15], v[2:3]
	v_dual_lshlrev_b32 v2, 2, v2 :: v_dual_cndmask_b32 v10, v8, v9, vcc_lo
	v_cndmask_b32_e32 v11, v11, v12, vcc_lo
	s_delay_alu instid0(VALU_DEP_2) | instskip(NEXT) | instid1(VALU_DEP_4)
	v_add_nc_u64_e32 v[2:3], s[12:13], v[2:3]
	v_lshl_add_u64 v[4:5], v[4:5], 2, s[12:13]
	s_mov_b32 s12, 0
	s_cselect_b32 s13, -1, 0
	s_wait_loadcnt 0x0
	v_subrev_nc_u32_e32 v12, s17, v6
	v_subrev_nc_u32_e32 v13, s17, v7
	s_wait_xcnt 0x0
	v_cmp_lt_i32_e64 s0, v6, v7
	s_branch .LBB96_9
.LBB96_8:                               ;   in Loop: Header=BB96_9 Depth=1
	s_wait_xcnt 0x0
	s_or_b32 exec_lo, exec_lo, s1
	s_add_co_i32 s12, s12, 64
	s_delay_alu instid0(SALU_CYCLE_1)
	s_cmp_lt_i32 s12, s22
	s_cbranch_scc0 .LBB96_30
.LBB96_9:                               ; =>This Loop Header: Depth=1
                                        ;     Child Loop BB96_12 Depth 2
                                        ;       Child Loop BB96_16 Depth 3
	v_dual_mov_b32 v15, 0 :: v_dual_bitop2_b32 v6, s12, v0 bitop3:0x54
	s_delay_alu instid0(VALU_DEP_1) | instskip(NEXT) | instid1(VALU_DEP_3)
	v_ashrrev_i32_e32 v7, 31, v6
	s_and_saveexec_b32 s16, s0
	s_cbranch_execz .LBB96_18
; %bb.10:                               ;   in Loop: Header=BB96_9 Depth=1
	s_delay_alu instid0(VALU_DEP_1)
	v_add_nc_u64_e32 v[8:9], s[10:11], v[6:7]
	v_dual_mov_b32 v15, 0 :: v_dual_mov_b32 v16, v12
	s_mov_b32 s18, 0
	v_cmp_gt_i32_e32 vcc_lo, s22, v6
	s_branch .LBB96_12
.LBB96_11:                              ;   in Loop: Header=BB96_12 Depth=2
	s_or_b32 exec_lo, exec_lo, s1
	v_add_nc_u32_e32 v16, 64, v16
	s_delay_alu instid0(VALU_DEP_1) | instskip(SKIP_1) | instid1(SALU_CYCLE_1)
	v_cmp_ge_i32_e64 s1, v16, v13
	s_or_b32 s18, s1, s18
	s_and_not1_b32 exec_lo, exec_lo, s18
	s_cbranch_execz .LBB96_17
.LBB96_12:                              ;   Parent Loop BB96_9 Depth=1
                                        ; =>  This Loop Header: Depth=2
                                        ;       Child Loop BB96_16 Depth 3
	s_delay_alu instid0(VALU_DEP_2) | instskip(SKIP_2) | instid1(VALU_DEP_2)
	v_dual_mov_b32 v19, 0 :: v_dual_add_nc_u32 v20, v16, v0
	v_dual_mov_b32 v17, 0 :: v_dual_mov_b32 v18, 0
	s_mov_b32 s19, exec_lo
	v_cmpx_lt_i32_e64 v20, v13
	s_cbranch_execz .LBB96_14
; %bb.13:                               ;   in Loop: Header=BB96_12 Depth=2
	global_load_b32 v19, v20, s[6:7] scale_offset
	s_wait_loadcnt 0x0
	v_subrev_nc_u32_e32 v19, s17, v19
	s_delay_alu instid0(VALU_DEP_1) | instskip(SKIP_1) | instid1(VALU_DEP_1)
	v_dual_lshlrev_b32 v17, 2, v20 :: v_dual_lshlrev_b32 v19, 1, v19
	s_wait_xcnt 0x0
	v_or_b32_e32 v20, v17, v10
	v_or_b32_e32 v21, v17, v11
	s_clause 0x1
	global_load_u8 v17, v20, s[8:9]
	global_load_u8 v18, v21, s[8:9]
.LBB96_14:                              ;   in Loop: Header=BB96_12 Depth=2
	s_wait_xcnt 0x0
	s_or_b32 exec_lo, exec_lo, s19
	ds_store_b32 v1, v19
	s_wait_loadcnt 0x1
	ds_store_b8 v14, v17
	s_wait_loadcnt 0x0
	ds_store_b8 v14, v18 offset:1
	s_wait_dscnt 0x0
	s_barrier_signal -1
	s_barrier_wait -1
	s_and_saveexec_b32 s1, vcc_lo
	s_cbranch_execz .LBB96_11
; %bb.15:                               ;   in Loop: Header=BB96_12 Depth=2
	v_mov_b32_e32 v17, 0x100
	s_mov_b32 s19, 0
.LBB96_16:                              ;   Parent Loop BB96_9 Depth=1
                                        ;     Parent Loop BB96_12 Depth=2
                                        ; =>    This Inner Loop Header: Depth=3
	s_delay_alu instid0(SALU_CYCLE_1)
	v_mov_b32_e32 v18, s19
	s_add_co_i32 s19, s19, 8
	ds_load_b64 v[18:19], v18
	s_wait_dscnt 0x0
	v_readfirstlane_b32 s20, v18
	v_readfirstlane_b32 s21, v19
	s_wait_kmcnt 0x0
	s_delay_alu instid0(VALU_DEP_2)
	v_mad_nc_u64_u32 v[18:19], s4, s20, v[8:9]
	s_ashr_i32 s23, s20, 31
	s_mul_i32 s25, s5, s20
	s_add_co_i32 s20, s20, 1
	s_mul_i32 s23, s4, s23
	v_mad_nc_u64_u32 v[22:23], s4, s20, v[8:9]
	s_ashr_i32 s26, s21, 31
	v_mad_nc_u64_u32 v[20:21], s4, s21, v[8:9]
	s_mul_i32 s27, s5, s21
	s_add_co_i32 s21, s21, 1
	s_ashr_i32 s28, s20, 31
	v_add3_u32 v19, s23, s25, v19
	v_mad_nc_u64_u32 v[24:25], s4, s21, v[8:9]
	s_mul_i32 s20, s5, s20
	s_mul_i32 s23, s4, s28
	;; [unrolled: 1-line block ×3, first 2 shown]
	v_add3_u32 v23, s23, s20, v23
	global_load_i8 v18, v[18:19], off
	s_ashr_i32 s20, s21, 31
	s_mul_i32 s21, s5, s21
	s_mul_i32 s20, s4, s20
	global_load_i8 v19, v[22:23], off
	v_add3_u32 v21, s26, s27, v21
	v_add3_u32 v25, s20, s21, v25
	s_clause 0x1
	global_load_i8 v22, v[20:21], off
	global_load_i8 v23, v[24:25], off
	s_wait_xcnt 0x1
	ds_load_u16 v20, v17
	ds_load_i8 v21, v17 offset:3
	s_wait_xcnt 0x0
	ds_load_i8 v24, v17 offset:4
	s_cmp_lg_u32 s19, 0x100
	v_add_nc_u32_e32 v17, 6, v17
	s_wait_dscnt 0x2
	v_bfe_i32 v25, v20, 0, 8
	v_ashrrev_i16 v20, 8, v20
	s_delay_alu instid0(VALU_DEP_2) | instskip(NEXT) | instid1(VALU_DEP_2)
	v_bfe_i32 v25, v25, 0, 16
	v_bfe_i32 v20, v20, 0, 16
	s_delay_alu instid0(VALU_DEP_2) | instskip(NEXT) | instid1(VALU_DEP_2)
	v_cvt_f32_i32_e32 v25, v25
	v_cvt_f32_i32_e32 v20, v20
	s_wait_loadcnt 0x3
	v_cvt_f32_i32_e32 v18, v18
	s_wait_loadcnt 0x2
	v_cvt_f32_i32_e32 v19, v19
	s_delay_alu instid0(VALU_DEP_2)
	v_fmac_f32_e32 v15, v25, v18
	s_wait_dscnt 0x1
	v_cvt_f32_i32_e32 v18, v21
	s_wait_loadcnt 0x1
	v_cvt_f32_i32_e32 v21, v22
	v_fmac_f32_e32 v15, v20, v19
	s_wait_dscnt 0x0
	v_cvt_f32_i32_e32 v19, v24
	s_wait_loadcnt 0x0
	v_cvt_f32_i32_e32 v20, v23
	v_fmac_f32_e32 v15, v18, v21
	s_delay_alu instid0(VALU_DEP_1)
	v_fmac_f32_e32 v15, v19, v20
	s_cbranch_scc1 .LBB96_16
	s_branch .LBB96_11
.LBB96_17:                              ;   in Loop: Header=BB96_9 Depth=1
	s_or_b32 exec_lo, exec_lo, s18
.LBB96_18:                              ;   in Loop: Header=BB96_9 Depth=1
	s_delay_alu instid0(SALU_CYCLE_1) | instskip(NEXT) | instid1(SALU_CYCLE_1)
	s_or_b32 exec_lo, exec_lo, s16
	s_mov_b32 s1, exec_lo
	v_cmpx_gt_i32_e64 s22, v6
	s_cbranch_execz .LBB96_8
; %bb.19:                               ;   in Loop: Header=BB96_9 Depth=1
	s_and_b32 vcc_lo, exec_lo, s3
	s_cbranch_vccz .LBB96_25
; %bb.20:                               ;   in Loop: Header=BB96_9 Depth=1
	s_and_b32 vcc_lo, exec_lo, s13
	s_mov_b32 s16, -1
	s_cbranch_vccz .LBB96_22
; %bb.21:                               ;   in Loop: Header=BB96_9 Depth=1
	v_lshl_add_u64 v[8:9], v[6:7], 2, v[4:5]
	v_mul_f32_e32 v17, s2, v15
	s_mov_b32 s16, 0
	global_load_b32 v16, v[8:9], off
	s_wait_loadcnt 0x0
	v_fmac_f32_e32 v17, s24, v16
	global_store_b32 v[8:9], v17, off
.LBB96_22:                              ;   in Loop: Header=BB96_9 Depth=1
	s_and_not1_b32 vcc_lo, exec_lo, s16
	s_cbranch_vccnz .LBB96_24
; %bb.23:                               ;   in Loop: Header=BB96_9 Depth=1
	s_wait_xcnt 0x0
	v_mul_u64_e32 v[8:9], s[14:15], v[6:7]
	v_mul_f32_e32 v17, s2, v15
	s_delay_alu instid0(VALU_DEP_2)
	v_lshl_add_u64 v[8:9], v[8:9], 2, v[2:3]
	global_load_b32 v16, v[8:9], off
	s_wait_loadcnt 0x0
	v_fmac_f32_e32 v17, s24, v16
	global_store_b32 v[8:9], v17, off
.LBB96_24:                              ;   in Loop: Header=BB96_9 Depth=1
	s_cbranch_execnz .LBB96_8
	s_branch .LBB96_26
.LBB96_25:                              ;   in Loop: Header=BB96_9 Depth=1
.LBB96_26:                              ;   in Loop: Header=BB96_9 Depth=1
	s_wait_xcnt 0x0
	v_mul_f32_e32 v8, s2, v15
	s_and_b32 vcc_lo, exec_lo, s13
	s_mov_b32 s16, -1
	s_cbranch_vccz .LBB96_28
; %bb.27:                               ;   in Loop: Header=BB96_9 Depth=1
	v_lshl_add_u64 v[16:17], v[6:7], 2, v[4:5]
	s_mov_b32 s16, 0
	global_store_b32 v[16:17], v8, off
.LBB96_28:                              ;   in Loop: Header=BB96_9 Depth=1
	s_and_not1_b32 vcc_lo, exec_lo, s16
	s_cbranch_vccnz .LBB96_8
; %bb.29:                               ;   in Loop: Header=BB96_9 Depth=1
	v_mul_u64_e32 v[6:7], s[14:15], v[6:7]
	s_delay_alu instid0(VALU_DEP_1)
	v_lshl_add_u64 v[6:7], v[6:7], 2, v[2:3]
	global_store_b32 v[6:7], v8, off
	s_branch .LBB96_8
.LBB96_30:
	s_endpgm
	.section	.rodata,"a",@progbits
	.p2align	6, 0x0
	.amdhsa_kernel _ZN9rocsparseL29bsrmmnt_small_blockdim_kernelILj64ELj64ELj2EiiaaffEEv20rocsparse_direction_T3_S2_llNS_24const_host_device_scalarIT7_EEPKT2_PKS2_PKT4_PKT5_llS5_PT6_ll16rocsparse_order_21rocsparse_index_base_b
		.amdhsa_group_segment_fixed_size 448
		.amdhsa_private_segment_fixed_size 0
		.amdhsa_kernarg_size 392
		.amdhsa_user_sgpr_count 2
		.amdhsa_user_sgpr_dispatch_ptr 0
		.amdhsa_user_sgpr_queue_ptr 0
		.amdhsa_user_sgpr_kernarg_segment_ptr 1
		.amdhsa_user_sgpr_dispatch_id 0
		.amdhsa_user_sgpr_kernarg_preload_length 0
		.amdhsa_user_sgpr_kernarg_preload_offset 0
		.amdhsa_user_sgpr_private_segment_size 0
		.amdhsa_wavefront_size32 1
		.amdhsa_uses_dynamic_stack 0
		.amdhsa_enable_private_segment 0
		.amdhsa_system_sgpr_workgroup_id_x 1
		.amdhsa_system_sgpr_workgroup_id_y 0
		.amdhsa_system_sgpr_workgroup_id_z 0
		.amdhsa_system_sgpr_workgroup_info 0
		.amdhsa_system_vgpr_workitem_id 0
		.amdhsa_next_free_vgpr 26
		.amdhsa_next_free_sgpr 29
		.amdhsa_named_barrier_count 0
		.amdhsa_reserve_vcc 1
		.amdhsa_float_round_mode_32 0
		.amdhsa_float_round_mode_16_64 0
		.amdhsa_float_denorm_mode_32 3
		.amdhsa_float_denorm_mode_16_64 3
		.amdhsa_fp16_overflow 0
		.amdhsa_memory_ordered 1
		.amdhsa_forward_progress 1
		.amdhsa_inst_pref_size 11
		.amdhsa_round_robin_scheduling 0
		.amdhsa_exception_fp_ieee_invalid_op 0
		.amdhsa_exception_fp_denorm_src 0
		.amdhsa_exception_fp_ieee_div_zero 0
		.amdhsa_exception_fp_ieee_overflow 0
		.amdhsa_exception_fp_ieee_underflow 0
		.amdhsa_exception_fp_ieee_inexact 0
		.amdhsa_exception_int_div_zero 0
	.end_amdhsa_kernel
	.section	.text._ZN9rocsparseL29bsrmmnt_small_blockdim_kernelILj64ELj64ELj2EiiaaffEEv20rocsparse_direction_T3_S2_llNS_24const_host_device_scalarIT7_EEPKT2_PKS2_PKT4_PKT5_llS5_PT6_ll16rocsparse_order_21rocsparse_index_base_b,"axG",@progbits,_ZN9rocsparseL29bsrmmnt_small_blockdim_kernelILj64ELj64ELj2EiiaaffEEv20rocsparse_direction_T3_S2_llNS_24const_host_device_scalarIT7_EEPKT2_PKS2_PKT4_PKT5_llS5_PT6_ll16rocsparse_order_21rocsparse_index_base_b,comdat
.Lfunc_end96:
	.size	_ZN9rocsparseL29bsrmmnt_small_blockdim_kernelILj64ELj64ELj2EiiaaffEEv20rocsparse_direction_T3_S2_llNS_24const_host_device_scalarIT7_EEPKT2_PKS2_PKT4_PKT5_llS5_PT6_ll16rocsparse_order_21rocsparse_index_base_b, .Lfunc_end96-_ZN9rocsparseL29bsrmmnt_small_blockdim_kernelILj64ELj64ELj2EiiaaffEEv20rocsparse_direction_T3_S2_llNS_24const_host_device_scalarIT7_EEPKT2_PKS2_PKT4_PKT5_llS5_PT6_ll16rocsparse_order_21rocsparse_index_base_b
                                        ; -- End function
	.set _ZN9rocsparseL29bsrmmnt_small_blockdim_kernelILj64ELj64ELj2EiiaaffEEv20rocsparse_direction_T3_S2_llNS_24const_host_device_scalarIT7_EEPKT2_PKS2_PKT4_PKT5_llS5_PT6_ll16rocsparse_order_21rocsparse_index_base_b.num_vgpr, 26
	.set _ZN9rocsparseL29bsrmmnt_small_blockdim_kernelILj64ELj64ELj2EiiaaffEEv20rocsparse_direction_T3_S2_llNS_24const_host_device_scalarIT7_EEPKT2_PKS2_PKT4_PKT5_llS5_PT6_ll16rocsparse_order_21rocsparse_index_base_b.num_agpr, 0
	.set _ZN9rocsparseL29bsrmmnt_small_blockdim_kernelILj64ELj64ELj2EiiaaffEEv20rocsparse_direction_T3_S2_llNS_24const_host_device_scalarIT7_EEPKT2_PKS2_PKT4_PKT5_llS5_PT6_ll16rocsparse_order_21rocsparse_index_base_b.numbered_sgpr, 29
	.set _ZN9rocsparseL29bsrmmnt_small_blockdim_kernelILj64ELj64ELj2EiiaaffEEv20rocsparse_direction_T3_S2_llNS_24const_host_device_scalarIT7_EEPKT2_PKS2_PKT4_PKT5_llS5_PT6_ll16rocsparse_order_21rocsparse_index_base_b.num_named_barrier, 0
	.set _ZN9rocsparseL29bsrmmnt_small_blockdim_kernelILj64ELj64ELj2EiiaaffEEv20rocsparse_direction_T3_S2_llNS_24const_host_device_scalarIT7_EEPKT2_PKS2_PKT4_PKT5_llS5_PT6_ll16rocsparse_order_21rocsparse_index_base_b.private_seg_size, 0
	.set _ZN9rocsparseL29bsrmmnt_small_blockdim_kernelILj64ELj64ELj2EiiaaffEEv20rocsparse_direction_T3_S2_llNS_24const_host_device_scalarIT7_EEPKT2_PKS2_PKT4_PKT5_llS5_PT6_ll16rocsparse_order_21rocsparse_index_base_b.uses_vcc, 1
	.set _ZN9rocsparseL29bsrmmnt_small_blockdim_kernelILj64ELj64ELj2EiiaaffEEv20rocsparse_direction_T3_S2_llNS_24const_host_device_scalarIT7_EEPKT2_PKS2_PKT4_PKT5_llS5_PT6_ll16rocsparse_order_21rocsparse_index_base_b.uses_flat_scratch, 0
	.set _ZN9rocsparseL29bsrmmnt_small_blockdim_kernelILj64ELj64ELj2EiiaaffEEv20rocsparse_direction_T3_S2_llNS_24const_host_device_scalarIT7_EEPKT2_PKS2_PKT4_PKT5_llS5_PT6_ll16rocsparse_order_21rocsparse_index_base_b.has_dyn_sized_stack, 0
	.set _ZN9rocsparseL29bsrmmnt_small_blockdim_kernelILj64ELj64ELj2EiiaaffEEv20rocsparse_direction_T3_S2_llNS_24const_host_device_scalarIT7_EEPKT2_PKS2_PKT4_PKT5_llS5_PT6_ll16rocsparse_order_21rocsparse_index_base_b.has_recursion, 0
	.set _ZN9rocsparseL29bsrmmnt_small_blockdim_kernelILj64ELj64ELj2EiiaaffEEv20rocsparse_direction_T3_S2_llNS_24const_host_device_scalarIT7_EEPKT2_PKS2_PKT4_PKT5_llS5_PT6_ll16rocsparse_order_21rocsparse_index_base_b.has_indirect_call, 0
	.section	.AMDGPU.csdata,"",@progbits
; Kernel info:
; codeLenInByte = 1368
; TotalNumSgprs: 31
; NumVgprs: 26
; ScratchSize: 0
; MemoryBound: 0
; FloatMode: 240
; IeeeMode: 1
; LDSByteSize: 448 bytes/workgroup (compile time only)
; SGPRBlocks: 0
; VGPRBlocks: 1
; NumSGPRsForWavesPerEU: 31
; NumVGPRsForWavesPerEU: 26
; NamedBarCnt: 0
; Occupancy: 16
; WaveLimiterHint : 0
; COMPUTE_PGM_RSRC2:SCRATCH_EN: 0
; COMPUTE_PGM_RSRC2:USER_SGPR: 2
; COMPUTE_PGM_RSRC2:TRAP_HANDLER: 0
; COMPUTE_PGM_RSRC2:TGID_X_EN: 1
; COMPUTE_PGM_RSRC2:TGID_Y_EN: 0
; COMPUTE_PGM_RSRC2:TGID_Z_EN: 0
; COMPUTE_PGM_RSRC2:TIDIG_COMP_CNT: 0
	.section	.text._ZN9rocsparseL29bsrmmnt_small_blockdim_kernelILj64ELj8ELj2EliaaffEEv20rocsparse_direction_T3_S2_llNS_24const_host_device_scalarIT7_EEPKT2_PKS2_PKT4_PKT5_llS5_PT6_ll16rocsparse_order_21rocsparse_index_base_b,"axG",@progbits,_ZN9rocsparseL29bsrmmnt_small_blockdim_kernelILj64ELj8ELj2EliaaffEEv20rocsparse_direction_T3_S2_llNS_24const_host_device_scalarIT7_EEPKT2_PKS2_PKT4_PKT5_llS5_PT6_ll16rocsparse_order_21rocsparse_index_base_b,comdat
	.globl	_ZN9rocsparseL29bsrmmnt_small_blockdim_kernelILj64ELj8ELj2EliaaffEEv20rocsparse_direction_T3_S2_llNS_24const_host_device_scalarIT7_EEPKT2_PKS2_PKT4_PKT5_llS5_PT6_ll16rocsparse_order_21rocsparse_index_base_b ; -- Begin function _ZN9rocsparseL29bsrmmnt_small_blockdim_kernelILj64ELj8ELj2EliaaffEEv20rocsparse_direction_T3_S2_llNS_24const_host_device_scalarIT7_EEPKT2_PKS2_PKT4_PKT5_llS5_PT6_ll16rocsparse_order_21rocsparse_index_base_b
	.p2align	8
	.type	_ZN9rocsparseL29bsrmmnt_small_blockdim_kernelILj64ELj8ELj2EliaaffEEv20rocsparse_direction_T3_S2_llNS_24const_host_device_scalarIT7_EEPKT2_PKS2_PKT4_PKT5_llS5_PT6_ll16rocsparse_order_21rocsparse_index_base_b,@function
_ZN9rocsparseL29bsrmmnt_small_blockdim_kernelILj64ELj8ELj2EliaaffEEv20rocsparse_direction_T3_S2_llNS_24const_host_device_scalarIT7_EEPKT2_PKS2_PKT4_PKT5_llS5_PT6_ll16rocsparse_order_21rocsparse_index_base_b: ; @_ZN9rocsparseL29bsrmmnt_small_blockdim_kernelILj64ELj8ELj2EliaaffEEv20rocsparse_direction_T3_S2_llNS_24const_host_device_scalarIT7_EEPKT2_PKS2_PKT4_PKT5_llS5_PT6_ll16rocsparse_order_21rocsparse_index_base_b
; %bb.0:
	s_clause 0x2
	s_load_b96 s[16:18], s[0:1], 0x78
	s_load_b64 s[2:3], s[0:1], 0x20
	s_load_b64 s[24:25], s[0:1], 0x58
	s_wait_kmcnt 0x0
	s_bitcmp1_b32 s18, 0
	s_cselect_b32 s4, -1, 0
	s_delay_alu instid0(SALU_CYCLE_1)
	s_and_b32 vcc_lo, exec_lo, s4
	s_xor_b32 s4, s4, -1
	s_cbranch_vccnz .LBB97_2
; %bb.1:
	s_load_b32 s2, s[2:3], 0x0
.LBB97_2:
	s_and_not1_b32 vcc_lo, exec_lo, s4
	s_cbranch_vccnz .LBB97_4
; %bb.3:
	s_load_b32 s24, s[24:25], 0x0
.LBB97_4:
	s_wait_kmcnt 0x0
	s_cmp_eq_f32 s2, 0
	s_cselect_b32 s3, -1, 0
	s_cmp_eq_f32 s24, 1.0
	s_cselect_b32 s4, -1, 0
	s_delay_alu instid0(SALU_CYCLE_1) | instskip(NEXT) | instid1(SALU_CYCLE_1)
	s_and_b32 s3, s3, s4
	s_and_b32 vcc_lo, exec_lo, s3
	s_cbranch_vccnz .LBB97_30
; %bb.5:
	s_clause 0x1
	s_load_b32 s3, s[0:1], 0x94
	s_load_b96 s[20:22], s[0:1], 0x0
	s_bfe_u32 s4, ttmp6, 0x4000c
	s_and_b32 s5, ttmp6, 15
	s_add_co_i32 s4, s4, 1
	s_getreg_b32 s6, hwreg(HW_REG_IB_STS2, 6, 4)
	s_mul_i32 s4, ttmp9, s4
	s_delay_alu instid0(SALU_CYCLE_1) | instskip(SKIP_4) | instid1(SALU_CYCLE_1)
	s_add_co_i32 s5, s5, s4
	s_wait_kmcnt 0x0
	s_and_b32 s3, s3, 0xffff
	s_cmp_eq_u32 s6, 0
	s_cselect_b32 s4, ttmp9, s5
	v_mad_u32 v2, s4, s3, v0
	s_mov_b32 s3, exec_lo
	s_delay_alu instid0(VALU_DEP_1) | instskip(NEXT) | instid1(VALU_DEP_1)
	v_lshrrev_b32_e32 v1, 4, v2
	v_cmpx_gt_i32_e64 s21, v1
	s_cbranch_execz .LBB97_30
; %bb.6:
	s_cmp_lt_i32 s22, 1
	s_cbranch_scc1 .LBB97_30
; %bb.7:
	s_load_b256 s[4:11], s[0:1], 0x28
	v_dual_lshlrev_b32 v1, 3, v1 :: v_dual_lshrrev_b32 v4, 3, v2
	s_load_b128 s[12:15], s[0:1], 0x60
	s_cmp_neq_f32 s24, 0
	s_mov_b32 s19, 0
	s_mov_b32 s18, s17
	v_lshrrev_b32_e32 v3, 3, v0
	s_cselect_b32 s3, -1, 0
	s_cmp_lg_u32 s16, 1
	v_and_b32_e32 v0, 7, v0
	s_cselect_b32 s16, -1, 0
	s_cmp_eq_u32 s20, 0
	v_lshlrev_b32_e32 v20, 5, v3
	v_mul_u32_u24_e32 v6, 24, v3
	v_mul_u32_u24_e32 v16, 3, v0
	s_delay_alu instid0(VALU_DEP_2)
	v_or_b32_e32 v22, 0x100, v6
	s_wait_kmcnt 0x0
	global_load_b128 v[8:11], v1, s[4:5]
	s_wait_xcnt 0x0
	v_mov_b32_e32 v1, 0
	s_load_b64 s[4:5], s[0:1], 0x48
	s_wait_xcnt 0x0
	s_cselect_b32 s1, -1, 0
	s_delay_alu instid0(VALU_DEP_1) | instskip(SKIP_1) | instid1(VALU_DEP_2)
	v_dual_add_nc_u32 v23, v22, v16 :: v_dual_mov_b32 v5, v1
	v_dual_mov_b32 v3, v1 :: v_dual_mov_b32 v15, v1
	v_mul_u64_e32 v[12:13], s[14:15], v[4:5]
	v_bfe_u32 v5, v2, 3, 1
	v_lshlrev_b32_e32 v2, 2, v4
	v_cndmask_b32_e64 v4, 0, 1, s1
	v_lshl_or_b32 v21, v0, 2, v20
	s_and_b32 s1, s1, exec_lo
	s_delay_alu instid0(VALU_DEP_3) | instskip(NEXT) | instid1(VALU_DEP_3)
	v_add_nc_u64_e32 v[2:3], s[12:13], v[2:3]
	v_lshlrev_b32_e32 v14, v4, v5
	s_wait_loadcnt 0x0
	v_sub_nc_u64_e64 v[4:5], v[8:9], s[18:19]
	v_sub_nc_u64_e64 v[6:7], v[10:11], s[18:19]
	v_cmp_lt_i64_e64 s0, v[8:9], v[10:11]
	v_add_nc_u64_e32 v[8:9], s[8:9], v[14:15]
	v_lshl_add_u64 v[10:11], v[12:13], 2, s[12:13]
	s_cselect_b32 s18, 1, 2
	s_mov_b32 s8, s19
	s_branch .LBB97_9
.LBB97_8:                               ;   in Loop: Header=BB97_9 Depth=1
	s_wait_xcnt 0x0
	s_or_b32 exec_lo, exec_lo, s1
	s_add_co_i32 s8, s8, 8
	s_delay_alu instid0(SALU_CYCLE_1)
	s_cmp_lt_i32 s8, s22
	s_cbranch_scc0 .LBB97_30
.LBB97_9:                               ; =>This Loop Header: Depth=1
                                        ;     Child Loop BB97_12 Depth 2
                                        ;       Child Loop BB97_16 Depth 3
	v_dual_mov_b32 v24, 0 :: v_dual_bitop2_b32 v12, s8, v0 bitop3:0x54
	s_delay_alu instid0(VALU_DEP_1)
	v_ashrrev_i32_e32 v13, 31, v12
	s_and_saveexec_b32 s9, s0
	s_cbranch_execz .LBB97_18
; %bb.10:                               ;   in Loop: Header=BB97_9 Depth=1
	s_delay_alu instid0(VALU_DEP_1)
	v_add_nc_u64_e32 v[14:15], s[10:11], v[12:13]
	v_mov_b64_e32 v[16:17], v[4:5]
	v_mov_b32_e32 v24, 0
	s_mov_b32 s12, 0
	v_cmp_gt_i32_e32 vcc_lo, s22, v12
	s_branch .LBB97_12
.LBB97_11:                              ;   in Loop: Header=BB97_12 Depth=2
	s_wait_xcnt 0x0
	s_or_b32 exec_lo, exec_lo, s1
	v_add_nc_u64_e32 v[16:17], 8, v[16:17]
	s_delay_alu instid0(VALU_DEP_1) | instskip(SKIP_1) | instid1(SALU_CYCLE_1)
	v_cmp_ge_i64_e64 s1, v[16:17], v[6:7]
	s_or_b32 s12, s1, s12
	s_and_not1_b32 exec_lo, exec_lo, s12
	s_cbranch_execz .LBB97_17
.LBB97_12:                              ;   Parent Loop BB97_9 Depth=1
                                        ; =>  This Loop Header: Depth=2
                                        ;       Child Loop BB97_16 Depth 3
	s_delay_alu instid0(VALU_DEP_3) | instskip(SKIP_3) | instid1(VALU_DEP_3)
	v_add_nc_u64_e32 v[18:19], v[16:17], v[0:1]
	v_dual_mov_b32 v27, 0 :: v_dual_mov_b32 v25, 0
	v_mov_b32_e32 v26, 0
	s_mov_b32 s13, exec_lo
	v_cmpx_lt_i64_e64 v[18:19], v[6:7]
	s_cbranch_execz .LBB97_14
; %bb.13:                               ;   in Loop: Header=BB97_12 Depth=2
	v_lshlrev_b64_e32 v[18:19], 2, v[18:19]
	s_delay_alu instid0(VALU_DEP_1)
	v_add_nc_u64_e32 v[26:27], s[6:7], v[18:19]
	v_add_nc_u64_e32 v[18:19], v[8:9], v[18:19]
	global_load_b32 v27, v[26:27], off
	v_add_nc_u64_e32 v[28:29], s[18:19], v[18:19]
	s_clause 0x1
	global_load_u8 v25, v[18:19], off
	global_load_u8 v26, v[28:29], off
	s_wait_loadcnt 0x2
	s_wait_xcnt 0x1
	v_subrev_nc_u32_e32 v18, s17, v27
	s_delay_alu instid0(VALU_DEP_1)
	v_lshlrev_b32_e32 v27, 1, v18
.LBB97_14:                              ;   in Loop: Header=BB97_12 Depth=2
	s_wait_xcnt 0x0
	s_or_b32 exec_lo, exec_lo, s13
	ds_store_b32 v21, v27
	s_wait_loadcnt 0x1
	ds_store_b8 v23, v25
	s_wait_loadcnt 0x0
	ds_store_b8 v23, v26 offset:1
	s_wait_dscnt 0x0
	s_barrier_signal -1
	s_barrier_wait -1
	s_and_saveexec_b32 s1, vcc_lo
	s_cbranch_execz .LBB97_11
; %bb.15:                               ;   in Loop: Header=BB97_12 Depth=2
	v_mov_b32_e32 v18, v22
	s_mov_b32 s13, 0
.LBB97_16:                              ;   Parent Loop BB97_9 Depth=1
                                        ;     Parent Loop BB97_12 Depth=2
                                        ; =>    This Inner Loop Header: Depth=3
	s_delay_alu instid0(SALU_CYCLE_1) | instskip(SKIP_1) | instid1(SALU_CYCLE_1)
	v_add_nc_u32_e32 v19, s13, v20
	s_add_co_i32 s13, s13, 8
	s_cmp_lg_u32 s13, 32
	ds_load_b64 v[26:27], v19
	s_wait_dscnt 0x0
	s_wait_kmcnt 0x0
	v_mad_nc_u64_u32 v[28:29], s4, v26, v[14:15]
	v_dual_add_nc_u32 v19, 1, v26 :: v_dual_add_nc_u32 v25, 1, v27
	s_wait_xcnt 0x1
	v_mad_nc_u64_u32 v[32:33], s4, v27, v[14:15]
	s_wait_xcnt 0x0
	s_delay_alu instid0(VALU_DEP_2) | instskip(NEXT) | instid1(VALU_DEP_4)
	v_mad_nc_u64_u32 v[34:35], s4, v25, v[14:15]
	v_mad_u32 v29, s5, v26, v29
	v_ashrrev_i32_e32 v26, 31, v26
	v_mad_nc_u64_u32 v[30:31], s4, v19, v[14:15]
	v_mad_u32 v33, s5, v27, v33
	s_delay_alu instid0(VALU_DEP_3) | instskip(SKIP_1) | instid1(VALU_DEP_4)
	v_mad_u32 v29, s4, v26, v29
	v_ashrrev_i32_e32 v26, 31, v27
	v_mad_u32 v31, s5, v19, v31
	v_mad_u32 v27, s5, v25, v35
	v_ashrrev_i32_e32 v19, 31, v19
	s_delay_alu instid0(VALU_DEP_1)
	v_mad_u32 v31, s4, v19, v31
	v_ashrrev_i32_e32 v19, 31, v25
	v_mad_u32 v33, s4, v26, v33
	global_load_i8 v25, v[28:29], off
	v_mad_u32 v35, s4, v19, v27
	s_clause 0x2
	global_load_i8 v19, v[30:31], off
	global_load_i8 v26, v[32:33], off
	;; [unrolled: 1-line block ×3, first 2 shown]
	s_wait_xcnt 0x3
	ds_load_u16 v28, v18
	ds_load_i8 v29, v18 offset:3
	s_wait_xcnt 0x2
	ds_load_i8 v30, v18 offset:4
	v_add_nc_u32_e32 v18, 6, v18
	s_wait_dscnt 0x2
	v_bfe_i32 v31, v28, 0, 8
	v_ashrrev_i16 v28, 8, v28
	s_delay_alu instid0(VALU_DEP_2) | instskip(NEXT) | instid1(VALU_DEP_2)
	v_bfe_i32 v31, v31, 0, 16
	v_bfe_i32 v28, v28, 0, 16
	s_delay_alu instid0(VALU_DEP_2) | instskip(NEXT) | instid1(VALU_DEP_2)
	v_cvt_f32_i32_e32 v31, v31
	v_cvt_f32_i32_e32 v28, v28
	s_wait_loadcnt 0x3
	v_cvt_f32_i32_e32 v25, v25
	s_delay_alu instid0(VALU_DEP_1)
	v_fmac_f32_e32 v24, v31, v25
	s_wait_dscnt 0x1
	v_cvt_f32_i32_e32 v25, v29
	s_wait_loadcnt 0x2
	v_cvt_f32_i32_e32 v19, v19
	s_wait_loadcnt 0x1
	;; [unrolled: 2-line block ×3, first 2 shown]
	v_cvt_f32_i32_e32 v27, v27
	v_fmac_f32_e32 v24, v28, v19
	s_wait_dscnt 0x0
	v_cvt_f32_i32_e32 v19, v30
	s_delay_alu instid0(VALU_DEP_2) | instskip(NEXT) | instid1(VALU_DEP_1)
	v_fmac_f32_e32 v24, v25, v26
	v_fmac_f32_e32 v24, v19, v27
	s_cbranch_scc1 .LBB97_16
	s_branch .LBB97_11
.LBB97_17:                              ;   in Loop: Header=BB97_9 Depth=1
	s_or_b32 exec_lo, exec_lo, s12
.LBB97_18:                              ;   in Loop: Header=BB97_9 Depth=1
	s_delay_alu instid0(SALU_CYCLE_1) | instskip(NEXT) | instid1(SALU_CYCLE_1)
	s_or_b32 exec_lo, exec_lo, s9
	s_mov_b32 s1, exec_lo
	v_cmpx_gt_i32_e64 s22, v12
	s_cbranch_execz .LBB97_8
; %bb.19:                               ;   in Loop: Header=BB97_9 Depth=1
	s_and_b32 vcc_lo, exec_lo, s3
	s_cbranch_vccz .LBB97_25
; %bb.20:                               ;   in Loop: Header=BB97_9 Depth=1
	s_and_b32 vcc_lo, exec_lo, s16
	s_mov_b32 s9, -1
	s_cbranch_vccz .LBB97_22
; %bb.21:                               ;   in Loop: Header=BB97_9 Depth=1
	v_lshl_add_u64 v[14:15], v[12:13], 2, v[10:11]
	v_mul_f32_e32 v17, s2, v24
	s_mov_b32 s9, 0
	global_load_b32 v16, v[14:15], off
	s_wait_loadcnt 0x0
	v_fmac_f32_e32 v17, s24, v16
	global_store_b32 v[14:15], v17, off
.LBB97_22:                              ;   in Loop: Header=BB97_9 Depth=1
	s_and_not1_b32 vcc_lo, exec_lo, s9
	s_cbranch_vccnz .LBB97_24
; %bb.23:                               ;   in Loop: Header=BB97_9 Depth=1
	s_wait_xcnt 0x0
	v_mul_u64_e32 v[14:15], s[14:15], v[12:13]
	v_mul_f32_e32 v17, s2, v24
	s_delay_alu instid0(VALU_DEP_2)
	v_lshl_add_u64 v[14:15], v[14:15], 2, v[2:3]
	global_load_b32 v16, v[14:15], off
	s_wait_loadcnt 0x0
	v_fmac_f32_e32 v17, s24, v16
	global_store_b32 v[14:15], v17, off
.LBB97_24:                              ;   in Loop: Header=BB97_9 Depth=1
	s_cbranch_execnz .LBB97_8
	s_branch .LBB97_26
.LBB97_25:                              ;   in Loop: Header=BB97_9 Depth=1
.LBB97_26:                              ;   in Loop: Header=BB97_9 Depth=1
	s_wait_xcnt 0x0
	v_mul_f32_e32 v14, s2, v24
	s_and_b32 vcc_lo, exec_lo, s16
	s_mov_b32 s9, -1
	s_cbranch_vccz .LBB97_28
; %bb.27:                               ;   in Loop: Header=BB97_9 Depth=1
	v_lshl_add_u64 v[16:17], v[12:13], 2, v[10:11]
	s_mov_b32 s9, 0
	global_store_b32 v[16:17], v14, off
.LBB97_28:                              ;   in Loop: Header=BB97_9 Depth=1
	s_and_not1_b32 vcc_lo, exec_lo, s9
	s_cbranch_vccnz .LBB97_8
; %bb.29:                               ;   in Loop: Header=BB97_9 Depth=1
	v_mul_u64_e32 v[12:13], s[14:15], v[12:13]
	s_delay_alu instid0(VALU_DEP_1)
	v_lshl_add_u64 v[12:13], v[12:13], 2, v[2:3]
	global_store_b32 v[12:13], v14, off
	s_branch .LBB97_8
.LBB97_30:
	s_endpgm
	.section	.rodata,"a",@progbits
	.p2align	6, 0x0
	.amdhsa_kernel _ZN9rocsparseL29bsrmmnt_small_blockdim_kernelILj64ELj8ELj2EliaaffEEv20rocsparse_direction_T3_S2_llNS_24const_host_device_scalarIT7_EEPKT2_PKS2_PKT4_PKT5_llS5_PT6_ll16rocsparse_order_21rocsparse_index_base_b
		.amdhsa_group_segment_fixed_size 448
		.amdhsa_private_segment_fixed_size 0
		.amdhsa_kernarg_size 392
		.amdhsa_user_sgpr_count 2
		.amdhsa_user_sgpr_dispatch_ptr 0
		.amdhsa_user_sgpr_queue_ptr 0
		.amdhsa_user_sgpr_kernarg_segment_ptr 1
		.amdhsa_user_sgpr_dispatch_id 0
		.amdhsa_user_sgpr_kernarg_preload_length 0
		.amdhsa_user_sgpr_kernarg_preload_offset 0
		.amdhsa_user_sgpr_private_segment_size 0
		.amdhsa_wavefront_size32 1
		.amdhsa_uses_dynamic_stack 0
		.amdhsa_enable_private_segment 0
		.amdhsa_system_sgpr_workgroup_id_x 1
		.amdhsa_system_sgpr_workgroup_id_y 0
		.amdhsa_system_sgpr_workgroup_id_z 0
		.amdhsa_system_sgpr_workgroup_info 0
		.amdhsa_system_vgpr_workitem_id 0
		.amdhsa_next_free_vgpr 36
		.amdhsa_next_free_sgpr 26
		.amdhsa_named_barrier_count 0
		.amdhsa_reserve_vcc 1
		.amdhsa_float_round_mode_32 0
		.amdhsa_float_round_mode_16_64 0
		.amdhsa_float_denorm_mode_32 3
		.amdhsa_float_denorm_mode_16_64 3
		.amdhsa_fp16_overflow 0
		.amdhsa_memory_ordered 1
		.amdhsa_forward_progress 1
		.amdhsa_inst_pref_size 12
		.amdhsa_round_robin_scheduling 0
		.amdhsa_exception_fp_ieee_invalid_op 0
		.amdhsa_exception_fp_denorm_src 0
		.amdhsa_exception_fp_ieee_div_zero 0
		.amdhsa_exception_fp_ieee_overflow 0
		.amdhsa_exception_fp_ieee_underflow 0
		.amdhsa_exception_fp_ieee_inexact 0
		.amdhsa_exception_int_div_zero 0
	.end_amdhsa_kernel
	.section	.text._ZN9rocsparseL29bsrmmnt_small_blockdim_kernelILj64ELj8ELj2EliaaffEEv20rocsparse_direction_T3_S2_llNS_24const_host_device_scalarIT7_EEPKT2_PKS2_PKT4_PKT5_llS5_PT6_ll16rocsparse_order_21rocsparse_index_base_b,"axG",@progbits,_ZN9rocsparseL29bsrmmnt_small_blockdim_kernelILj64ELj8ELj2EliaaffEEv20rocsparse_direction_T3_S2_llNS_24const_host_device_scalarIT7_EEPKT2_PKS2_PKT4_PKT5_llS5_PT6_ll16rocsparse_order_21rocsparse_index_base_b,comdat
.Lfunc_end97:
	.size	_ZN9rocsparseL29bsrmmnt_small_blockdim_kernelILj64ELj8ELj2EliaaffEEv20rocsparse_direction_T3_S2_llNS_24const_host_device_scalarIT7_EEPKT2_PKS2_PKT4_PKT5_llS5_PT6_ll16rocsparse_order_21rocsparse_index_base_b, .Lfunc_end97-_ZN9rocsparseL29bsrmmnt_small_blockdim_kernelILj64ELj8ELj2EliaaffEEv20rocsparse_direction_T3_S2_llNS_24const_host_device_scalarIT7_EEPKT2_PKS2_PKT4_PKT5_llS5_PT6_ll16rocsparse_order_21rocsparse_index_base_b
                                        ; -- End function
	.set _ZN9rocsparseL29bsrmmnt_small_blockdim_kernelILj64ELj8ELj2EliaaffEEv20rocsparse_direction_T3_S2_llNS_24const_host_device_scalarIT7_EEPKT2_PKS2_PKT4_PKT5_llS5_PT6_ll16rocsparse_order_21rocsparse_index_base_b.num_vgpr, 36
	.set _ZN9rocsparseL29bsrmmnt_small_blockdim_kernelILj64ELj8ELj2EliaaffEEv20rocsparse_direction_T3_S2_llNS_24const_host_device_scalarIT7_EEPKT2_PKS2_PKT4_PKT5_llS5_PT6_ll16rocsparse_order_21rocsparse_index_base_b.num_agpr, 0
	.set _ZN9rocsparseL29bsrmmnt_small_blockdim_kernelILj64ELj8ELj2EliaaffEEv20rocsparse_direction_T3_S2_llNS_24const_host_device_scalarIT7_EEPKT2_PKS2_PKT4_PKT5_llS5_PT6_ll16rocsparse_order_21rocsparse_index_base_b.numbered_sgpr, 26
	.set _ZN9rocsparseL29bsrmmnt_small_blockdim_kernelILj64ELj8ELj2EliaaffEEv20rocsparse_direction_T3_S2_llNS_24const_host_device_scalarIT7_EEPKT2_PKS2_PKT4_PKT5_llS5_PT6_ll16rocsparse_order_21rocsparse_index_base_b.num_named_barrier, 0
	.set _ZN9rocsparseL29bsrmmnt_small_blockdim_kernelILj64ELj8ELj2EliaaffEEv20rocsparse_direction_T3_S2_llNS_24const_host_device_scalarIT7_EEPKT2_PKS2_PKT4_PKT5_llS5_PT6_ll16rocsparse_order_21rocsparse_index_base_b.private_seg_size, 0
	.set _ZN9rocsparseL29bsrmmnt_small_blockdim_kernelILj64ELj8ELj2EliaaffEEv20rocsparse_direction_T3_S2_llNS_24const_host_device_scalarIT7_EEPKT2_PKS2_PKT4_PKT5_llS5_PT6_ll16rocsparse_order_21rocsparse_index_base_b.uses_vcc, 1
	.set _ZN9rocsparseL29bsrmmnt_small_blockdim_kernelILj64ELj8ELj2EliaaffEEv20rocsparse_direction_T3_S2_llNS_24const_host_device_scalarIT7_EEPKT2_PKS2_PKT4_PKT5_llS5_PT6_ll16rocsparse_order_21rocsparse_index_base_b.uses_flat_scratch, 0
	.set _ZN9rocsparseL29bsrmmnt_small_blockdim_kernelILj64ELj8ELj2EliaaffEEv20rocsparse_direction_T3_S2_llNS_24const_host_device_scalarIT7_EEPKT2_PKS2_PKT4_PKT5_llS5_PT6_ll16rocsparse_order_21rocsparse_index_base_b.has_dyn_sized_stack, 0
	.set _ZN9rocsparseL29bsrmmnt_small_blockdim_kernelILj64ELj8ELj2EliaaffEEv20rocsparse_direction_T3_S2_llNS_24const_host_device_scalarIT7_EEPKT2_PKS2_PKT4_PKT5_llS5_PT6_ll16rocsparse_order_21rocsparse_index_base_b.has_recursion, 0
	.set _ZN9rocsparseL29bsrmmnt_small_blockdim_kernelILj64ELj8ELj2EliaaffEEv20rocsparse_direction_T3_S2_llNS_24const_host_device_scalarIT7_EEPKT2_PKS2_PKT4_PKT5_llS5_PT6_ll16rocsparse_order_21rocsparse_index_base_b.has_indirect_call, 0
	.section	.AMDGPU.csdata,"",@progbits
; Kernel info:
; codeLenInByte = 1440
; TotalNumSgprs: 28
; NumVgprs: 36
; ScratchSize: 0
; MemoryBound: 0
; FloatMode: 240
; IeeeMode: 1
; LDSByteSize: 448 bytes/workgroup (compile time only)
; SGPRBlocks: 0
; VGPRBlocks: 2
; NumSGPRsForWavesPerEU: 28
; NumVGPRsForWavesPerEU: 36
; NamedBarCnt: 0
; Occupancy: 16
; WaveLimiterHint : 0
; COMPUTE_PGM_RSRC2:SCRATCH_EN: 0
; COMPUTE_PGM_RSRC2:USER_SGPR: 2
; COMPUTE_PGM_RSRC2:TRAP_HANDLER: 0
; COMPUTE_PGM_RSRC2:TGID_X_EN: 1
; COMPUTE_PGM_RSRC2:TGID_Y_EN: 0
; COMPUTE_PGM_RSRC2:TGID_Z_EN: 0
; COMPUTE_PGM_RSRC2:TIDIG_COMP_CNT: 0
	.section	.text._ZN9rocsparseL29bsrmmnt_small_blockdim_kernelILj64ELj16ELj2EliaaffEEv20rocsparse_direction_T3_S2_llNS_24const_host_device_scalarIT7_EEPKT2_PKS2_PKT4_PKT5_llS5_PT6_ll16rocsparse_order_21rocsparse_index_base_b,"axG",@progbits,_ZN9rocsparseL29bsrmmnt_small_blockdim_kernelILj64ELj16ELj2EliaaffEEv20rocsparse_direction_T3_S2_llNS_24const_host_device_scalarIT7_EEPKT2_PKS2_PKT4_PKT5_llS5_PT6_ll16rocsparse_order_21rocsparse_index_base_b,comdat
	.globl	_ZN9rocsparseL29bsrmmnt_small_blockdim_kernelILj64ELj16ELj2EliaaffEEv20rocsparse_direction_T3_S2_llNS_24const_host_device_scalarIT7_EEPKT2_PKS2_PKT4_PKT5_llS5_PT6_ll16rocsparse_order_21rocsparse_index_base_b ; -- Begin function _ZN9rocsparseL29bsrmmnt_small_blockdim_kernelILj64ELj16ELj2EliaaffEEv20rocsparse_direction_T3_S2_llNS_24const_host_device_scalarIT7_EEPKT2_PKS2_PKT4_PKT5_llS5_PT6_ll16rocsparse_order_21rocsparse_index_base_b
	.p2align	8
	.type	_ZN9rocsparseL29bsrmmnt_small_blockdim_kernelILj64ELj16ELj2EliaaffEEv20rocsparse_direction_T3_S2_llNS_24const_host_device_scalarIT7_EEPKT2_PKS2_PKT4_PKT5_llS5_PT6_ll16rocsparse_order_21rocsparse_index_base_b,@function
_ZN9rocsparseL29bsrmmnt_small_blockdim_kernelILj64ELj16ELj2EliaaffEEv20rocsparse_direction_T3_S2_llNS_24const_host_device_scalarIT7_EEPKT2_PKS2_PKT4_PKT5_llS5_PT6_ll16rocsparse_order_21rocsparse_index_base_b: ; @_ZN9rocsparseL29bsrmmnt_small_blockdim_kernelILj64ELj16ELj2EliaaffEEv20rocsparse_direction_T3_S2_llNS_24const_host_device_scalarIT7_EEPKT2_PKS2_PKT4_PKT5_llS5_PT6_ll16rocsparse_order_21rocsparse_index_base_b
; %bb.0:
	s_clause 0x2
	s_load_b96 s[16:18], s[0:1], 0x78
	s_load_b64 s[2:3], s[0:1], 0x20
	s_load_b64 s[24:25], s[0:1], 0x58
	s_wait_kmcnt 0x0
	s_bitcmp1_b32 s18, 0
	s_cselect_b32 s4, -1, 0
	s_delay_alu instid0(SALU_CYCLE_1)
	s_and_b32 vcc_lo, exec_lo, s4
	s_xor_b32 s4, s4, -1
	s_cbranch_vccnz .LBB98_2
; %bb.1:
	s_load_b32 s2, s[2:3], 0x0
.LBB98_2:
	s_and_not1_b32 vcc_lo, exec_lo, s4
	s_cbranch_vccnz .LBB98_4
; %bb.3:
	s_load_b32 s24, s[24:25], 0x0
.LBB98_4:
	s_wait_kmcnt 0x0
	s_cmp_eq_f32 s2, 0
	s_cselect_b32 s3, -1, 0
	s_cmp_eq_f32 s24, 1.0
	s_cselect_b32 s4, -1, 0
	s_delay_alu instid0(SALU_CYCLE_1) | instskip(NEXT) | instid1(SALU_CYCLE_1)
	s_and_b32 s3, s3, s4
	s_and_b32 vcc_lo, exec_lo, s3
	s_cbranch_vccnz .LBB98_30
; %bb.5:
	s_clause 0x1
	s_load_b32 s3, s[0:1], 0x94
	s_load_b96 s[20:22], s[0:1], 0x0
	s_bfe_u32 s4, ttmp6, 0x4000c
	s_and_b32 s5, ttmp6, 15
	s_add_co_i32 s4, s4, 1
	s_getreg_b32 s6, hwreg(HW_REG_IB_STS2, 6, 4)
	s_mul_i32 s4, ttmp9, s4
	s_delay_alu instid0(SALU_CYCLE_1) | instskip(SKIP_4) | instid1(SALU_CYCLE_1)
	s_add_co_i32 s5, s5, s4
	s_wait_kmcnt 0x0
	s_and_b32 s3, s3, 0xffff
	s_cmp_eq_u32 s6, 0
	s_cselect_b32 s4, ttmp9, s5
	v_mad_u32 v2, s4, s3, v0
	s_mov_b32 s3, exec_lo
	s_delay_alu instid0(VALU_DEP_1) | instskip(NEXT) | instid1(VALU_DEP_1)
	v_lshrrev_b32_e32 v1, 5, v2
	v_cmpx_gt_i32_e64 s21, v1
	s_cbranch_execz .LBB98_30
; %bb.6:
	s_cmp_lt_i32 s22, 1
	s_cbranch_scc1 .LBB98_30
; %bb.7:
	s_load_b256 s[4:11], s[0:1], 0x28
	v_dual_lshlrev_b32 v1, 3, v1 :: v_dual_lshrrev_b32 v4, 4, v2
	s_load_b128 s[12:15], s[0:1], 0x60
	s_cmp_neq_f32 s24, 0
	s_mov_b32 s19, 0
	s_mov_b32 s18, s17
	v_lshrrev_b32_e32 v3, 4, v0
	s_cselect_b32 s3, -1, 0
	s_cmp_lg_u32 s16, 1
	v_and_b32_e32 v0, 15, v0
	s_cselect_b32 s16, -1, 0
	s_cmp_eq_u32 s20, 0
	v_lshlrev_b32_e32 v20, 6, v3
	v_mul_u32_u24_e32 v6, 48, v3
	v_mul_u32_u24_e32 v16, 3, v0
	s_delay_alu instid0(VALU_DEP_2)
	v_or_b32_e32 v22, 0x100, v6
	s_wait_kmcnt 0x0
	global_load_b128 v[8:11], v1, s[4:5]
	s_wait_xcnt 0x0
	v_mov_b32_e32 v1, 0
	s_load_b64 s[4:5], s[0:1], 0x48
	s_wait_xcnt 0x0
	s_cselect_b32 s1, -1, 0
	s_delay_alu instid0(VALU_DEP_1) | instskip(SKIP_1) | instid1(VALU_DEP_2)
	v_dual_add_nc_u32 v23, v22, v16 :: v_dual_mov_b32 v5, v1
	v_dual_mov_b32 v3, v1 :: v_dual_mov_b32 v15, v1
	v_mul_u64_e32 v[12:13], s[14:15], v[4:5]
	v_bfe_u32 v5, v2, 4, 1
	v_lshlrev_b32_e32 v2, 2, v4
	v_cndmask_b32_e64 v4, 0, 1, s1
	v_lshl_or_b32 v21, v0, 2, v20
	s_and_b32 s1, s1, exec_lo
	s_delay_alu instid0(VALU_DEP_3) | instskip(NEXT) | instid1(VALU_DEP_3)
	v_add_nc_u64_e32 v[2:3], s[12:13], v[2:3]
	v_lshlrev_b32_e32 v14, v4, v5
	s_wait_loadcnt 0x0
	v_sub_nc_u64_e64 v[4:5], v[8:9], s[18:19]
	v_sub_nc_u64_e64 v[6:7], v[10:11], s[18:19]
	v_cmp_lt_i64_e64 s0, v[8:9], v[10:11]
	v_add_nc_u64_e32 v[8:9], s[8:9], v[14:15]
	v_lshl_add_u64 v[10:11], v[12:13], 2, s[12:13]
	s_cselect_b32 s18, 1, 2
	s_mov_b32 s8, s19
	s_branch .LBB98_9
.LBB98_8:                               ;   in Loop: Header=BB98_9 Depth=1
	s_wait_xcnt 0x0
	s_or_b32 exec_lo, exec_lo, s1
	s_add_co_i32 s8, s8, 16
	s_delay_alu instid0(SALU_CYCLE_1)
	s_cmp_lt_i32 s8, s22
	s_cbranch_scc0 .LBB98_30
.LBB98_9:                               ; =>This Loop Header: Depth=1
                                        ;     Child Loop BB98_12 Depth 2
                                        ;       Child Loop BB98_16 Depth 3
	v_dual_mov_b32 v24, 0 :: v_dual_bitop2_b32 v12, s8, v0 bitop3:0x54
	s_delay_alu instid0(VALU_DEP_1)
	v_ashrrev_i32_e32 v13, 31, v12
	s_and_saveexec_b32 s9, s0
	s_cbranch_execz .LBB98_18
; %bb.10:                               ;   in Loop: Header=BB98_9 Depth=1
	s_delay_alu instid0(VALU_DEP_1)
	v_add_nc_u64_e32 v[14:15], s[10:11], v[12:13]
	v_mov_b64_e32 v[16:17], v[4:5]
	v_mov_b32_e32 v24, 0
	s_mov_b32 s12, 0
	v_cmp_gt_i32_e32 vcc_lo, s22, v12
	s_branch .LBB98_12
.LBB98_11:                              ;   in Loop: Header=BB98_12 Depth=2
	s_wait_xcnt 0x0
	s_or_b32 exec_lo, exec_lo, s1
	v_add_nc_u64_e32 v[16:17], 16, v[16:17]
	s_delay_alu instid0(VALU_DEP_1) | instskip(SKIP_1) | instid1(SALU_CYCLE_1)
	v_cmp_ge_i64_e64 s1, v[16:17], v[6:7]
	s_or_b32 s12, s1, s12
	s_and_not1_b32 exec_lo, exec_lo, s12
	s_cbranch_execz .LBB98_17
.LBB98_12:                              ;   Parent Loop BB98_9 Depth=1
                                        ; =>  This Loop Header: Depth=2
                                        ;       Child Loop BB98_16 Depth 3
	s_delay_alu instid0(VALU_DEP_3) | instskip(SKIP_3) | instid1(VALU_DEP_3)
	v_add_nc_u64_e32 v[18:19], v[16:17], v[0:1]
	v_dual_mov_b32 v27, 0 :: v_dual_mov_b32 v25, 0
	v_mov_b32_e32 v26, 0
	s_mov_b32 s13, exec_lo
	v_cmpx_lt_i64_e64 v[18:19], v[6:7]
	s_cbranch_execz .LBB98_14
; %bb.13:                               ;   in Loop: Header=BB98_12 Depth=2
	v_lshlrev_b64_e32 v[18:19], 2, v[18:19]
	s_delay_alu instid0(VALU_DEP_1)
	v_add_nc_u64_e32 v[26:27], s[6:7], v[18:19]
	v_add_nc_u64_e32 v[18:19], v[8:9], v[18:19]
	global_load_b32 v27, v[26:27], off
	v_add_nc_u64_e32 v[28:29], s[18:19], v[18:19]
	s_clause 0x1
	global_load_u8 v25, v[18:19], off
	global_load_u8 v26, v[28:29], off
	s_wait_loadcnt 0x2
	s_wait_xcnt 0x1
	v_subrev_nc_u32_e32 v18, s17, v27
	s_delay_alu instid0(VALU_DEP_1)
	v_lshlrev_b32_e32 v27, 1, v18
.LBB98_14:                              ;   in Loop: Header=BB98_12 Depth=2
	s_wait_xcnt 0x0
	s_or_b32 exec_lo, exec_lo, s13
	ds_store_b32 v21, v27
	s_wait_loadcnt 0x1
	ds_store_b8 v23, v25
	s_wait_loadcnt 0x0
	ds_store_b8 v23, v26 offset:1
	s_wait_dscnt 0x0
	s_barrier_signal -1
	s_barrier_wait -1
	s_and_saveexec_b32 s1, vcc_lo
	s_cbranch_execz .LBB98_11
; %bb.15:                               ;   in Loop: Header=BB98_12 Depth=2
	v_mov_b32_e32 v18, v22
	s_mov_b32 s13, 0
.LBB98_16:                              ;   Parent Loop BB98_9 Depth=1
                                        ;     Parent Loop BB98_12 Depth=2
                                        ; =>    This Inner Loop Header: Depth=3
	s_delay_alu instid0(SALU_CYCLE_1) | instskip(SKIP_1) | instid1(SALU_CYCLE_1)
	v_add_nc_u32_e32 v19, s13, v20
	s_add_co_i32 s13, s13, 8
	s_cmp_lg_u32 s13, 64
	ds_load_b64 v[26:27], v19
	s_wait_dscnt 0x0
	s_wait_kmcnt 0x0
	v_mad_nc_u64_u32 v[28:29], s4, v26, v[14:15]
	v_dual_add_nc_u32 v19, 1, v26 :: v_dual_add_nc_u32 v25, 1, v27
	s_wait_xcnt 0x1
	v_mad_nc_u64_u32 v[32:33], s4, v27, v[14:15]
	s_wait_xcnt 0x0
	s_delay_alu instid0(VALU_DEP_2) | instskip(NEXT) | instid1(VALU_DEP_4)
	v_mad_nc_u64_u32 v[34:35], s4, v25, v[14:15]
	v_mad_u32 v29, s5, v26, v29
	v_ashrrev_i32_e32 v26, 31, v26
	v_mad_nc_u64_u32 v[30:31], s4, v19, v[14:15]
	v_mad_u32 v33, s5, v27, v33
	s_delay_alu instid0(VALU_DEP_3) | instskip(SKIP_1) | instid1(VALU_DEP_4)
	v_mad_u32 v29, s4, v26, v29
	v_ashrrev_i32_e32 v26, 31, v27
	v_mad_u32 v31, s5, v19, v31
	v_mad_u32 v27, s5, v25, v35
	v_ashrrev_i32_e32 v19, 31, v19
	s_delay_alu instid0(VALU_DEP_1)
	v_mad_u32 v31, s4, v19, v31
	v_ashrrev_i32_e32 v19, 31, v25
	v_mad_u32 v33, s4, v26, v33
	global_load_i8 v25, v[28:29], off
	v_mad_u32 v35, s4, v19, v27
	s_clause 0x2
	global_load_i8 v19, v[30:31], off
	global_load_i8 v26, v[32:33], off
	;; [unrolled: 1-line block ×3, first 2 shown]
	s_wait_xcnt 0x3
	ds_load_u16 v28, v18
	ds_load_i8 v29, v18 offset:3
	s_wait_xcnt 0x2
	ds_load_i8 v30, v18 offset:4
	v_add_nc_u32_e32 v18, 6, v18
	s_wait_dscnt 0x2
	v_bfe_i32 v31, v28, 0, 8
	v_ashrrev_i16 v28, 8, v28
	s_delay_alu instid0(VALU_DEP_2) | instskip(NEXT) | instid1(VALU_DEP_2)
	v_bfe_i32 v31, v31, 0, 16
	v_bfe_i32 v28, v28, 0, 16
	s_delay_alu instid0(VALU_DEP_2) | instskip(NEXT) | instid1(VALU_DEP_2)
	v_cvt_f32_i32_e32 v31, v31
	v_cvt_f32_i32_e32 v28, v28
	s_wait_loadcnt 0x3
	v_cvt_f32_i32_e32 v25, v25
	s_delay_alu instid0(VALU_DEP_1)
	v_fmac_f32_e32 v24, v31, v25
	s_wait_dscnt 0x1
	v_cvt_f32_i32_e32 v25, v29
	s_wait_loadcnt 0x2
	v_cvt_f32_i32_e32 v19, v19
	s_wait_loadcnt 0x1
	;; [unrolled: 2-line block ×3, first 2 shown]
	v_cvt_f32_i32_e32 v27, v27
	v_fmac_f32_e32 v24, v28, v19
	s_wait_dscnt 0x0
	v_cvt_f32_i32_e32 v19, v30
	s_delay_alu instid0(VALU_DEP_2) | instskip(NEXT) | instid1(VALU_DEP_1)
	v_fmac_f32_e32 v24, v25, v26
	v_fmac_f32_e32 v24, v19, v27
	s_cbranch_scc1 .LBB98_16
	s_branch .LBB98_11
.LBB98_17:                              ;   in Loop: Header=BB98_9 Depth=1
	s_or_b32 exec_lo, exec_lo, s12
.LBB98_18:                              ;   in Loop: Header=BB98_9 Depth=1
	s_delay_alu instid0(SALU_CYCLE_1) | instskip(NEXT) | instid1(SALU_CYCLE_1)
	s_or_b32 exec_lo, exec_lo, s9
	s_mov_b32 s1, exec_lo
	v_cmpx_gt_i32_e64 s22, v12
	s_cbranch_execz .LBB98_8
; %bb.19:                               ;   in Loop: Header=BB98_9 Depth=1
	s_and_b32 vcc_lo, exec_lo, s3
	s_cbranch_vccz .LBB98_25
; %bb.20:                               ;   in Loop: Header=BB98_9 Depth=1
	s_and_b32 vcc_lo, exec_lo, s16
	s_mov_b32 s9, -1
	s_cbranch_vccz .LBB98_22
; %bb.21:                               ;   in Loop: Header=BB98_9 Depth=1
	v_lshl_add_u64 v[14:15], v[12:13], 2, v[10:11]
	v_mul_f32_e32 v17, s2, v24
	s_mov_b32 s9, 0
	global_load_b32 v16, v[14:15], off
	s_wait_loadcnt 0x0
	v_fmac_f32_e32 v17, s24, v16
	global_store_b32 v[14:15], v17, off
.LBB98_22:                              ;   in Loop: Header=BB98_9 Depth=1
	s_and_not1_b32 vcc_lo, exec_lo, s9
	s_cbranch_vccnz .LBB98_24
; %bb.23:                               ;   in Loop: Header=BB98_9 Depth=1
	s_wait_xcnt 0x0
	v_mul_u64_e32 v[14:15], s[14:15], v[12:13]
	v_mul_f32_e32 v17, s2, v24
	s_delay_alu instid0(VALU_DEP_2)
	v_lshl_add_u64 v[14:15], v[14:15], 2, v[2:3]
	global_load_b32 v16, v[14:15], off
	s_wait_loadcnt 0x0
	v_fmac_f32_e32 v17, s24, v16
	global_store_b32 v[14:15], v17, off
.LBB98_24:                              ;   in Loop: Header=BB98_9 Depth=1
	s_cbranch_execnz .LBB98_8
	s_branch .LBB98_26
.LBB98_25:                              ;   in Loop: Header=BB98_9 Depth=1
.LBB98_26:                              ;   in Loop: Header=BB98_9 Depth=1
	s_wait_xcnt 0x0
	v_mul_f32_e32 v14, s2, v24
	s_and_b32 vcc_lo, exec_lo, s16
	s_mov_b32 s9, -1
	s_cbranch_vccz .LBB98_28
; %bb.27:                               ;   in Loop: Header=BB98_9 Depth=1
	v_lshl_add_u64 v[16:17], v[12:13], 2, v[10:11]
	s_mov_b32 s9, 0
	global_store_b32 v[16:17], v14, off
.LBB98_28:                              ;   in Loop: Header=BB98_9 Depth=1
	s_and_not1_b32 vcc_lo, exec_lo, s9
	s_cbranch_vccnz .LBB98_8
; %bb.29:                               ;   in Loop: Header=BB98_9 Depth=1
	v_mul_u64_e32 v[12:13], s[14:15], v[12:13]
	s_delay_alu instid0(VALU_DEP_1)
	v_lshl_add_u64 v[12:13], v[12:13], 2, v[2:3]
	global_store_b32 v[12:13], v14, off
	s_branch .LBB98_8
.LBB98_30:
	s_endpgm
	.section	.rodata,"a",@progbits
	.p2align	6, 0x0
	.amdhsa_kernel _ZN9rocsparseL29bsrmmnt_small_blockdim_kernelILj64ELj16ELj2EliaaffEEv20rocsparse_direction_T3_S2_llNS_24const_host_device_scalarIT7_EEPKT2_PKS2_PKT4_PKT5_llS5_PT6_ll16rocsparse_order_21rocsparse_index_base_b
		.amdhsa_group_segment_fixed_size 448
		.amdhsa_private_segment_fixed_size 0
		.amdhsa_kernarg_size 392
		.amdhsa_user_sgpr_count 2
		.amdhsa_user_sgpr_dispatch_ptr 0
		.amdhsa_user_sgpr_queue_ptr 0
		.amdhsa_user_sgpr_kernarg_segment_ptr 1
		.amdhsa_user_sgpr_dispatch_id 0
		.amdhsa_user_sgpr_kernarg_preload_length 0
		.amdhsa_user_sgpr_kernarg_preload_offset 0
		.amdhsa_user_sgpr_private_segment_size 0
		.amdhsa_wavefront_size32 1
		.amdhsa_uses_dynamic_stack 0
		.amdhsa_enable_private_segment 0
		.amdhsa_system_sgpr_workgroup_id_x 1
		.amdhsa_system_sgpr_workgroup_id_y 0
		.amdhsa_system_sgpr_workgroup_id_z 0
		.amdhsa_system_sgpr_workgroup_info 0
		.amdhsa_system_vgpr_workitem_id 0
		.amdhsa_next_free_vgpr 36
		.amdhsa_next_free_sgpr 26
		.amdhsa_named_barrier_count 0
		.amdhsa_reserve_vcc 1
		.amdhsa_float_round_mode_32 0
		.amdhsa_float_round_mode_16_64 0
		.amdhsa_float_denorm_mode_32 3
		.amdhsa_float_denorm_mode_16_64 3
		.amdhsa_fp16_overflow 0
		.amdhsa_memory_ordered 1
		.amdhsa_forward_progress 1
		.amdhsa_inst_pref_size 12
		.amdhsa_round_robin_scheduling 0
		.amdhsa_exception_fp_ieee_invalid_op 0
		.amdhsa_exception_fp_denorm_src 0
		.amdhsa_exception_fp_ieee_div_zero 0
		.amdhsa_exception_fp_ieee_overflow 0
		.amdhsa_exception_fp_ieee_underflow 0
		.amdhsa_exception_fp_ieee_inexact 0
		.amdhsa_exception_int_div_zero 0
	.end_amdhsa_kernel
	.section	.text._ZN9rocsparseL29bsrmmnt_small_blockdim_kernelILj64ELj16ELj2EliaaffEEv20rocsparse_direction_T3_S2_llNS_24const_host_device_scalarIT7_EEPKT2_PKS2_PKT4_PKT5_llS5_PT6_ll16rocsparse_order_21rocsparse_index_base_b,"axG",@progbits,_ZN9rocsparseL29bsrmmnt_small_blockdim_kernelILj64ELj16ELj2EliaaffEEv20rocsparse_direction_T3_S2_llNS_24const_host_device_scalarIT7_EEPKT2_PKS2_PKT4_PKT5_llS5_PT6_ll16rocsparse_order_21rocsparse_index_base_b,comdat
.Lfunc_end98:
	.size	_ZN9rocsparseL29bsrmmnt_small_blockdim_kernelILj64ELj16ELj2EliaaffEEv20rocsparse_direction_T3_S2_llNS_24const_host_device_scalarIT7_EEPKT2_PKS2_PKT4_PKT5_llS5_PT6_ll16rocsparse_order_21rocsparse_index_base_b, .Lfunc_end98-_ZN9rocsparseL29bsrmmnt_small_blockdim_kernelILj64ELj16ELj2EliaaffEEv20rocsparse_direction_T3_S2_llNS_24const_host_device_scalarIT7_EEPKT2_PKS2_PKT4_PKT5_llS5_PT6_ll16rocsparse_order_21rocsparse_index_base_b
                                        ; -- End function
	.set _ZN9rocsparseL29bsrmmnt_small_blockdim_kernelILj64ELj16ELj2EliaaffEEv20rocsparse_direction_T3_S2_llNS_24const_host_device_scalarIT7_EEPKT2_PKS2_PKT4_PKT5_llS5_PT6_ll16rocsparse_order_21rocsparse_index_base_b.num_vgpr, 36
	.set _ZN9rocsparseL29bsrmmnt_small_blockdim_kernelILj64ELj16ELj2EliaaffEEv20rocsparse_direction_T3_S2_llNS_24const_host_device_scalarIT7_EEPKT2_PKS2_PKT4_PKT5_llS5_PT6_ll16rocsparse_order_21rocsparse_index_base_b.num_agpr, 0
	.set _ZN9rocsparseL29bsrmmnt_small_blockdim_kernelILj64ELj16ELj2EliaaffEEv20rocsparse_direction_T3_S2_llNS_24const_host_device_scalarIT7_EEPKT2_PKS2_PKT4_PKT5_llS5_PT6_ll16rocsparse_order_21rocsparse_index_base_b.numbered_sgpr, 26
	.set _ZN9rocsparseL29bsrmmnt_small_blockdim_kernelILj64ELj16ELj2EliaaffEEv20rocsparse_direction_T3_S2_llNS_24const_host_device_scalarIT7_EEPKT2_PKS2_PKT4_PKT5_llS5_PT6_ll16rocsparse_order_21rocsparse_index_base_b.num_named_barrier, 0
	.set _ZN9rocsparseL29bsrmmnt_small_blockdim_kernelILj64ELj16ELj2EliaaffEEv20rocsparse_direction_T3_S2_llNS_24const_host_device_scalarIT7_EEPKT2_PKS2_PKT4_PKT5_llS5_PT6_ll16rocsparse_order_21rocsparse_index_base_b.private_seg_size, 0
	.set _ZN9rocsparseL29bsrmmnt_small_blockdim_kernelILj64ELj16ELj2EliaaffEEv20rocsparse_direction_T3_S2_llNS_24const_host_device_scalarIT7_EEPKT2_PKS2_PKT4_PKT5_llS5_PT6_ll16rocsparse_order_21rocsparse_index_base_b.uses_vcc, 1
	.set _ZN9rocsparseL29bsrmmnt_small_blockdim_kernelILj64ELj16ELj2EliaaffEEv20rocsparse_direction_T3_S2_llNS_24const_host_device_scalarIT7_EEPKT2_PKS2_PKT4_PKT5_llS5_PT6_ll16rocsparse_order_21rocsparse_index_base_b.uses_flat_scratch, 0
	.set _ZN9rocsparseL29bsrmmnt_small_blockdim_kernelILj64ELj16ELj2EliaaffEEv20rocsparse_direction_T3_S2_llNS_24const_host_device_scalarIT7_EEPKT2_PKS2_PKT4_PKT5_llS5_PT6_ll16rocsparse_order_21rocsparse_index_base_b.has_dyn_sized_stack, 0
	.set _ZN9rocsparseL29bsrmmnt_small_blockdim_kernelILj64ELj16ELj2EliaaffEEv20rocsparse_direction_T3_S2_llNS_24const_host_device_scalarIT7_EEPKT2_PKS2_PKT4_PKT5_llS5_PT6_ll16rocsparse_order_21rocsparse_index_base_b.has_recursion, 0
	.set _ZN9rocsparseL29bsrmmnt_small_blockdim_kernelILj64ELj16ELj2EliaaffEEv20rocsparse_direction_T3_S2_llNS_24const_host_device_scalarIT7_EEPKT2_PKS2_PKT4_PKT5_llS5_PT6_ll16rocsparse_order_21rocsparse_index_base_b.has_indirect_call, 0
	.section	.AMDGPU.csdata,"",@progbits
; Kernel info:
; codeLenInByte = 1440
; TotalNumSgprs: 28
; NumVgprs: 36
; ScratchSize: 0
; MemoryBound: 0
; FloatMode: 240
; IeeeMode: 1
; LDSByteSize: 448 bytes/workgroup (compile time only)
; SGPRBlocks: 0
; VGPRBlocks: 2
; NumSGPRsForWavesPerEU: 28
; NumVGPRsForWavesPerEU: 36
; NamedBarCnt: 0
; Occupancy: 16
; WaveLimiterHint : 0
; COMPUTE_PGM_RSRC2:SCRATCH_EN: 0
; COMPUTE_PGM_RSRC2:USER_SGPR: 2
; COMPUTE_PGM_RSRC2:TRAP_HANDLER: 0
; COMPUTE_PGM_RSRC2:TGID_X_EN: 1
; COMPUTE_PGM_RSRC2:TGID_Y_EN: 0
; COMPUTE_PGM_RSRC2:TGID_Z_EN: 0
; COMPUTE_PGM_RSRC2:TIDIG_COMP_CNT: 0
	.section	.text._ZN9rocsparseL29bsrmmnt_small_blockdim_kernelILj64ELj32ELj2EliaaffEEv20rocsparse_direction_T3_S2_llNS_24const_host_device_scalarIT7_EEPKT2_PKS2_PKT4_PKT5_llS5_PT6_ll16rocsparse_order_21rocsparse_index_base_b,"axG",@progbits,_ZN9rocsparseL29bsrmmnt_small_blockdim_kernelILj64ELj32ELj2EliaaffEEv20rocsparse_direction_T3_S2_llNS_24const_host_device_scalarIT7_EEPKT2_PKS2_PKT4_PKT5_llS5_PT6_ll16rocsparse_order_21rocsparse_index_base_b,comdat
	.globl	_ZN9rocsparseL29bsrmmnt_small_blockdim_kernelILj64ELj32ELj2EliaaffEEv20rocsparse_direction_T3_S2_llNS_24const_host_device_scalarIT7_EEPKT2_PKS2_PKT4_PKT5_llS5_PT6_ll16rocsparse_order_21rocsparse_index_base_b ; -- Begin function _ZN9rocsparseL29bsrmmnt_small_blockdim_kernelILj64ELj32ELj2EliaaffEEv20rocsparse_direction_T3_S2_llNS_24const_host_device_scalarIT7_EEPKT2_PKS2_PKT4_PKT5_llS5_PT6_ll16rocsparse_order_21rocsparse_index_base_b
	.p2align	8
	.type	_ZN9rocsparseL29bsrmmnt_small_blockdim_kernelILj64ELj32ELj2EliaaffEEv20rocsparse_direction_T3_S2_llNS_24const_host_device_scalarIT7_EEPKT2_PKS2_PKT4_PKT5_llS5_PT6_ll16rocsparse_order_21rocsparse_index_base_b,@function
_ZN9rocsparseL29bsrmmnt_small_blockdim_kernelILj64ELj32ELj2EliaaffEEv20rocsparse_direction_T3_S2_llNS_24const_host_device_scalarIT7_EEPKT2_PKS2_PKT4_PKT5_llS5_PT6_ll16rocsparse_order_21rocsparse_index_base_b: ; @_ZN9rocsparseL29bsrmmnt_small_blockdim_kernelILj64ELj32ELj2EliaaffEEv20rocsparse_direction_T3_S2_llNS_24const_host_device_scalarIT7_EEPKT2_PKS2_PKT4_PKT5_llS5_PT6_ll16rocsparse_order_21rocsparse_index_base_b
; %bb.0:
	s_clause 0x2
	s_load_b96 s[16:18], s[0:1], 0x78
	s_load_b64 s[2:3], s[0:1], 0x20
	s_load_b64 s[24:25], s[0:1], 0x58
	s_wait_kmcnt 0x0
	s_bitcmp1_b32 s18, 0
	s_cselect_b32 s4, -1, 0
	s_delay_alu instid0(SALU_CYCLE_1)
	s_and_b32 vcc_lo, exec_lo, s4
	s_xor_b32 s4, s4, -1
	s_cbranch_vccnz .LBB99_2
; %bb.1:
	s_load_b32 s2, s[2:3], 0x0
.LBB99_2:
	s_and_not1_b32 vcc_lo, exec_lo, s4
	s_cbranch_vccnz .LBB99_4
; %bb.3:
	s_load_b32 s24, s[24:25], 0x0
.LBB99_4:
	s_wait_kmcnt 0x0
	s_cmp_eq_f32 s2, 0
	s_cselect_b32 s3, -1, 0
	s_cmp_eq_f32 s24, 1.0
	s_cselect_b32 s4, -1, 0
	s_delay_alu instid0(SALU_CYCLE_1) | instskip(NEXT) | instid1(SALU_CYCLE_1)
	s_and_b32 s3, s3, s4
	s_and_b32 vcc_lo, exec_lo, s3
	s_cbranch_vccnz .LBB99_30
; %bb.5:
	s_clause 0x1
	s_load_b32 s3, s[0:1], 0x94
	s_load_b96 s[20:22], s[0:1], 0x0
	s_bfe_u32 s4, ttmp6, 0x4000c
	s_and_b32 s5, ttmp6, 15
	s_add_co_i32 s4, s4, 1
	s_getreg_b32 s6, hwreg(HW_REG_IB_STS2, 6, 4)
	s_mul_i32 s4, ttmp9, s4
	s_delay_alu instid0(SALU_CYCLE_1) | instskip(SKIP_4) | instid1(SALU_CYCLE_1)
	s_add_co_i32 s5, s5, s4
	s_wait_kmcnt 0x0
	s_and_b32 s3, s3, 0xffff
	s_cmp_eq_u32 s6, 0
	s_cselect_b32 s4, ttmp9, s5
	v_mad_u32 v2, s4, s3, v0
	s_mov_b32 s3, exec_lo
	s_delay_alu instid0(VALU_DEP_1) | instskip(NEXT) | instid1(VALU_DEP_1)
	v_lshrrev_b32_e32 v1, 6, v2
	v_cmpx_gt_i32_e64 s21, v1
	s_cbranch_execz .LBB99_30
; %bb.6:
	s_cmp_lt_i32 s22, 1
	s_cbranch_scc1 .LBB99_30
; %bb.7:
	s_load_b256 s[4:11], s[0:1], 0x28
	v_dual_lshlrev_b32 v1, 3, v1 :: v_dual_lshrrev_b32 v4, 5, v2
	s_load_b128 s[12:15], s[0:1], 0x60
	s_cmp_neq_f32 s24, 0
	s_mov_b32 s19, 0
	s_mov_b32 s18, s17
	v_lshrrev_b32_e32 v3, 5, v0
	s_cselect_b32 s3, -1, 0
	s_cmp_lg_u32 s16, 1
	v_and_b32_e32 v0, 31, v0
	s_cselect_b32 s16, -1, 0
	s_cmp_eq_u32 s20, 0
	v_lshlrev_b32_e32 v20, 7, v3
	v_mul_u32_u24_e32 v6, 0x60, v3
	v_mul_u32_u24_e32 v16, 3, v0
	s_delay_alu instid0(VALU_DEP_2)
	v_or_b32_e32 v22, 0x100, v6
	s_wait_kmcnt 0x0
	global_load_b128 v[8:11], v1, s[4:5]
	s_wait_xcnt 0x0
	v_mov_b32_e32 v1, 0
	s_load_b64 s[4:5], s[0:1], 0x48
	s_wait_xcnt 0x0
	s_cselect_b32 s1, -1, 0
	s_delay_alu instid0(VALU_DEP_1) | instskip(SKIP_1) | instid1(VALU_DEP_2)
	v_dual_add_nc_u32 v23, v22, v16 :: v_dual_mov_b32 v5, v1
	v_dual_mov_b32 v3, v1 :: v_dual_mov_b32 v15, v1
	v_mul_u64_e32 v[12:13], s[14:15], v[4:5]
	v_bfe_u32 v5, v2, 5, 1
	v_lshlrev_b32_e32 v2, 2, v4
	v_cndmask_b32_e64 v4, 0, 1, s1
	v_lshl_or_b32 v21, v0, 2, v20
	s_and_b32 s1, s1, exec_lo
	s_delay_alu instid0(VALU_DEP_3) | instskip(NEXT) | instid1(VALU_DEP_3)
	v_add_nc_u64_e32 v[2:3], s[12:13], v[2:3]
	v_lshlrev_b32_e32 v14, v4, v5
	s_wait_loadcnt 0x0
	v_sub_nc_u64_e64 v[4:5], v[8:9], s[18:19]
	v_sub_nc_u64_e64 v[6:7], v[10:11], s[18:19]
	v_cmp_lt_i64_e64 s0, v[8:9], v[10:11]
	v_add_nc_u64_e32 v[8:9], s[8:9], v[14:15]
	v_lshl_add_u64 v[10:11], v[12:13], 2, s[12:13]
	s_cselect_b32 s18, 1, 2
	s_mov_b32 s8, s19
	s_branch .LBB99_9
.LBB99_8:                               ;   in Loop: Header=BB99_9 Depth=1
	s_wait_xcnt 0x0
	s_or_b32 exec_lo, exec_lo, s1
	s_add_co_i32 s8, s8, 32
	s_delay_alu instid0(SALU_CYCLE_1)
	s_cmp_lt_i32 s8, s22
	s_cbranch_scc0 .LBB99_30
.LBB99_9:                               ; =>This Loop Header: Depth=1
                                        ;     Child Loop BB99_12 Depth 2
                                        ;       Child Loop BB99_16 Depth 3
	v_dual_mov_b32 v24, 0 :: v_dual_bitop2_b32 v12, s8, v0 bitop3:0x54
	s_delay_alu instid0(VALU_DEP_1)
	v_ashrrev_i32_e32 v13, 31, v12
	s_and_saveexec_b32 s9, s0
	s_cbranch_execz .LBB99_18
; %bb.10:                               ;   in Loop: Header=BB99_9 Depth=1
	s_delay_alu instid0(VALU_DEP_1)
	v_add_nc_u64_e32 v[14:15], s[10:11], v[12:13]
	v_mov_b64_e32 v[16:17], v[4:5]
	v_mov_b32_e32 v24, 0
	s_mov_b32 s12, 0
	v_cmp_gt_i32_e32 vcc_lo, s22, v12
	s_branch .LBB99_12
.LBB99_11:                              ;   in Loop: Header=BB99_12 Depth=2
	s_wait_xcnt 0x0
	s_or_b32 exec_lo, exec_lo, s1
	v_add_nc_u64_e32 v[16:17], 32, v[16:17]
	s_delay_alu instid0(VALU_DEP_1) | instskip(SKIP_1) | instid1(SALU_CYCLE_1)
	v_cmp_ge_i64_e64 s1, v[16:17], v[6:7]
	s_or_b32 s12, s1, s12
	s_and_not1_b32 exec_lo, exec_lo, s12
	s_cbranch_execz .LBB99_17
.LBB99_12:                              ;   Parent Loop BB99_9 Depth=1
                                        ; =>  This Loop Header: Depth=2
                                        ;       Child Loop BB99_16 Depth 3
	s_delay_alu instid0(VALU_DEP_3) | instskip(SKIP_3) | instid1(VALU_DEP_3)
	v_add_nc_u64_e32 v[18:19], v[16:17], v[0:1]
	v_dual_mov_b32 v27, 0 :: v_dual_mov_b32 v25, 0
	v_mov_b32_e32 v26, 0
	s_mov_b32 s13, exec_lo
	v_cmpx_lt_i64_e64 v[18:19], v[6:7]
	s_cbranch_execz .LBB99_14
; %bb.13:                               ;   in Loop: Header=BB99_12 Depth=2
	v_lshlrev_b64_e32 v[18:19], 2, v[18:19]
	s_delay_alu instid0(VALU_DEP_1)
	v_add_nc_u64_e32 v[26:27], s[6:7], v[18:19]
	v_add_nc_u64_e32 v[18:19], v[8:9], v[18:19]
	global_load_b32 v27, v[26:27], off
	v_add_nc_u64_e32 v[28:29], s[18:19], v[18:19]
	s_clause 0x1
	global_load_u8 v25, v[18:19], off
	global_load_u8 v26, v[28:29], off
	s_wait_loadcnt 0x2
	s_wait_xcnt 0x1
	v_subrev_nc_u32_e32 v18, s17, v27
	s_delay_alu instid0(VALU_DEP_1)
	v_lshlrev_b32_e32 v27, 1, v18
.LBB99_14:                              ;   in Loop: Header=BB99_12 Depth=2
	s_wait_xcnt 0x0
	s_or_b32 exec_lo, exec_lo, s13
	ds_store_b32 v21, v27
	s_wait_loadcnt 0x1
	ds_store_b8 v23, v25
	s_wait_loadcnt 0x0
	ds_store_b8 v23, v26 offset:1
	s_wait_dscnt 0x0
	s_barrier_signal -1
	s_barrier_wait -1
	s_and_saveexec_b32 s1, vcc_lo
	s_cbranch_execz .LBB99_11
; %bb.15:                               ;   in Loop: Header=BB99_12 Depth=2
	v_mov_b32_e32 v18, v22
	s_mov_b32 s13, 0
.LBB99_16:                              ;   Parent Loop BB99_9 Depth=1
                                        ;     Parent Loop BB99_12 Depth=2
                                        ; =>    This Inner Loop Header: Depth=3
	s_delay_alu instid0(SALU_CYCLE_1) | instskip(SKIP_1) | instid1(SALU_CYCLE_1)
	v_add_nc_u32_e32 v19, s13, v20
	s_add_co_i32 s13, s13, 8
	s_cmp_lg_u32 s13, 0x80
	ds_load_b64 v[26:27], v19
	s_wait_dscnt 0x0
	s_wait_kmcnt 0x0
	v_mad_nc_u64_u32 v[28:29], s4, v26, v[14:15]
	v_dual_add_nc_u32 v19, 1, v26 :: v_dual_add_nc_u32 v25, 1, v27
	s_wait_xcnt 0x1
	v_mad_nc_u64_u32 v[32:33], s4, v27, v[14:15]
	s_wait_xcnt 0x0
	s_delay_alu instid0(VALU_DEP_2) | instskip(NEXT) | instid1(VALU_DEP_4)
	v_mad_nc_u64_u32 v[34:35], s4, v25, v[14:15]
	v_mad_u32 v29, s5, v26, v29
	v_ashrrev_i32_e32 v26, 31, v26
	v_mad_nc_u64_u32 v[30:31], s4, v19, v[14:15]
	v_mad_u32 v33, s5, v27, v33
	s_delay_alu instid0(VALU_DEP_3) | instskip(SKIP_1) | instid1(VALU_DEP_4)
	v_mad_u32 v29, s4, v26, v29
	v_ashrrev_i32_e32 v26, 31, v27
	v_mad_u32 v31, s5, v19, v31
	v_mad_u32 v27, s5, v25, v35
	v_ashrrev_i32_e32 v19, 31, v19
	s_delay_alu instid0(VALU_DEP_1)
	v_mad_u32 v31, s4, v19, v31
	v_ashrrev_i32_e32 v19, 31, v25
	v_mad_u32 v33, s4, v26, v33
	global_load_i8 v25, v[28:29], off
	v_mad_u32 v35, s4, v19, v27
	s_clause 0x2
	global_load_i8 v19, v[30:31], off
	global_load_i8 v26, v[32:33], off
	;; [unrolled: 1-line block ×3, first 2 shown]
	s_wait_xcnt 0x3
	ds_load_u16 v28, v18
	ds_load_i8 v29, v18 offset:3
	s_wait_xcnt 0x2
	ds_load_i8 v30, v18 offset:4
	v_add_nc_u32_e32 v18, 6, v18
	s_wait_dscnt 0x2
	v_bfe_i32 v31, v28, 0, 8
	v_ashrrev_i16 v28, 8, v28
	s_delay_alu instid0(VALU_DEP_2) | instskip(NEXT) | instid1(VALU_DEP_2)
	v_bfe_i32 v31, v31, 0, 16
	v_bfe_i32 v28, v28, 0, 16
	s_delay_alu instid0(VALU_DEP_2) | instskip(NEXT) | instid1(VALU_DEP_2)
	v_cvt_f32_i32_e32 v31, v31
	v_cvt_f32_i32_e32 v28, v28
	s_wait_loadcnt 0x3
	v_cvt_f32_i32_e32 v25, v25
	s_delay_alu instid0(VALU_DEP_1)
	v_fmac_f32_e32 v24, v31, v25
	s_wait_dscnt 0x1
	v_cvt_f32_i32_e32 v25, v29
	s_wait_loadcnt 0x2
	v_cvt_f32_i32_e32 v19, v19
	s_wait_loadcnt 0x1
	;; [unrolled: 2-line block ×3, first 2 shown]
	v_cvt_f32_i32_e32 v27, v27
	v_fmac_f32_e32 v24, v28, v19
	s_wait_dscnt 0x0
	v_cvt_f32_i32_e32 v19, v30
	s_delay_alu instid0(VALU_DEP_2) | instskip(NEXT) | instid1(VALU_DEP_1)
	v_fmac_f32_e32 v24, v25, v26
	v_fmac_f32_e32 v24, v19, v27
	s_cbranch_scc1 .LBB99_16
	s_branch .LBB99_11
.LBB99_17:                              ;   in Loop: Header=BB99_9 Depth=1
	s_or_b32 exec_lo, exec_lo, s12
.LBB99_18:                              ;   in Loop: Header=BB99_9 Depth=1
	s_delay_alu instid0(SALU_CYCLE_1) | instskip(NEXT) | instid1(SALU_CYCLE_1)
	s_or_b32 exec_lo, exec_lo, s9
	s_mov_b32 s1, exec_lo
	v_cmpx_gt_i32_e64 s22, v12
	s_cbranch_execz .LBB99_8
; %bb.19:                               ;   in Loop: Header=BB99_9 Depth=1
	s_and_b32 vcc_lo, exec_lo, s3
	s_cbranch_vccz .LBB99_25
; %bb.20:                               ;   in Loop: Header=BB99_9 Depth=1
	s_and_b32 vcc_lo, exec_lo, s16
	s_mov_b32 s9, -1
	s_cbranch_vccz .LBB99_22
; %bb.21:                               ;   in Loop: Header=BB99_9 Depth=1
	v_lshl_add_u64 v[14:15], v[12:13], 2, v[10:11]
	v_mul_f32_e32 v17, s2, v24
	s_mov_b32 s9, 0
	global_load_b32 v16, v[14:15], off
	s_wait_loadcnt 0x0
	v_fmac_f32_e32 v17, s24, v16
	global_store_b32 v[14:15], v17, off
.LBB99_22:                              ;   in Loop: Header=BB99_9 Depth=1
	s_and_not1_b32 vcc_lo, exec_lo, s9
	s_cbranch_vccnz .LBB99_24
; %bb.23:                               ;   in Loop: Header=BB99_9 Depth=1
	s_wait_xcnt 0x0
	v_mul_u64_e32 v[14:15], s[14:15], v[12:13]
	v_mul_f32_e32 v17, s2, v24
	s_delay_alu instid0(VALU_DEP_2)
	v_lshl_add_u64 v[14:15], v[14:15], 2, v[2:3]
	global_load_b32 v16, v[14:15], off
	s_wait_loadcnt 0x0
	v_fmac_f32_e32 v17, s24, v16
	global_store_b32 v[14:15], v17, off
.LBB99_24:                              ;   in Loop: Header=BB99_9 Depth=1
	s_cbranch_execnz .LBB99_8
	s_branch .LBB99_26
.LBB99_25:                              ;   in Loop: Header=BB99_9 Depth=1
.LBB99_26:                              ;   in Loop: Header=BB99_9 Depth=1
	s_wait_xcnt 0x0
	v_mul_f32_e32 v14, s2, v24
	s_and_b32 vcc_lo, exec_lo, s16
	s_mov_b32 s9, -1
	s_cbranch_vccz .LBB99_28
; %bb.27:                               ;   in Loop: Header=BB99_9 Depth=1
	v_lshl_add_u64 v[16:17], v[12:13], 2, v[10:11]
	s_mov_b32 s9, 0
	global_store_b32 v[16:17], v14, off
.LBB99_28:                              ;   in Loop: Header=BB99_9 Depth=1
	s_and_not1_b32 vcc_lo, exec_lo, s9
	s_cbranch_vccnz .LBB99_8
; %bb.29:                               ;   in Loop: Header=BB99_9 Depth=1
	v_mul_u64_e32 v[12:13], s[14:15], v[12:13]
	s_delay_alu instid0(VALU_DEP_1)
	v_lshl_add_u64 v[12:13], v[12:13], 2, v[2:3]
	global_store_b32 v[12:13], v14, off
	s_branch .LBB99_8
.LBB99_30:
	s_endpgm
	.section	.rodata,"a",@progbits
	.p2align	6, 0x0
	.amdhsa_kernel _ZN9rocsparseL29bsrmmnt_small_blockdim_kernelILj64ELj32ELj2EliaaffEEv20rocsparse_direction_T3_S2_llNS_24const_host_device_scalarIT7_EEPKT2_PKS2_PKT4_PKT5_llS5_PT6_ll16rocsparse_order_21rocsparse_index_base_b
		.amdhsa_group_segment_fixed_size 448
		.amdhsa_private_segment_fixed_size 0
		.amdhsa_kernarg_size 392
		.amdhsa_user_sgpr_count 2
		.amdhsa_user_sgpr_dispatch_ptr 0
		.amdhsa_user_sgpr_queue_ptr 0
		.amdhsa_user_sgpr_kernarg_segment_ptr 1
		.amdhsa_user_sgpr_dispatch_id 0
		.amdhsa_user_sgpr_kernarg_preload_length 0
		.amdhsa_user_sgpr_kernarg_preload_offset 0
		.amdhsa_user_sgpr_private_segment_size 0
		.amdhsa_wavefront_size32 1
		.amdhsa_uses_dynamic_stack 0
		.amdhsa_enable_private_segment 0
		.amdhsa_system_sgpr_workgroup_id_x 1
		.amdhsa_system_sgpr_workgroup_id_y 0
		.amdhsa_system_sgpr_workgroup_id_z 0
		.amdhsa_system_sgpr_workgroup_info 0
		.amdhsa_system_vgpr_workitem_id 0
		.amdhsa_next_free_vgpr 36
		.amdhsa_next_free_sgpr 26
		.amdhsa_named_barrier_count 0
		.amdhsa_reserve_vcc 1
		.amdhsa_float_round_mode_32 0
		.amdhsa_float_round_mode_16_64 0
		.amdhsa_float_denorm_mode_32 3
		.amdhsa_float_denorm_mode_16_64 3
		.amdhsa_fp16_overflow 0
		.amdhsa_memory_ordered 1
		.amdhsa_forward_progress 1
		.amdhsa_inst_pref_size 12
		.amdhsa_round_robin_scheduling 0
		.amdhsa_exception_fp_ieee_invalid_op 0
		.amdhsa_exception_fp_denorm_src 0
		.amdhsa_exception_fp_ieee_div_zero 0
		.amdhsa_exception_fp_ieee_overflow 0
		.amdhsa_exception_fp_ieee_underflow 0
		.amdhsa_exception_fp_ieee_inexact 0
		.amdhsa_exception_int_div_zero 0
	.end_amdhsa_kernel
	.section	.text._ZN9rocsparseL29bsrmmnt_small_blockdim_kernelILj64ELj32ELj2EliaaffEEv20rocsparse_direction_T3_S2_llNS_24const_host_device_scalarIT7_EEPKT2_PKS2_PKT4_PKT5_llS5_PT6_ll16rocsparse_order_21rocsparse_index_base_b,"axG",@progbits,_ZN9rocsparseL29bsrmmnt_small_blockdim_kernelILj64ELj32ELj2EliaaffEEv20rocsparse_direction_T3_S2_llNS_24const_host_device_scalarIT7_EEPKT2_PKS2_PKT4_PKT5_llS5_PT6_ll16rocsparse_order_21rocsparse_index_base_b,comdat
.Lfunc_end99:
	.size	_ZN9rocsparseL29bsrmmnt_small_blockdim_kernelILj64ELj32ELj2EliaaffEEv20rocsparse_direction_T3_S2_llNS_24const_host_device_scalarIT7_EEPKT2_PKS2_PKT4_PKT5_llS5_PT6_ll16rocsparse_order_21rocsparse_index_base_b, .Lfunc_end99-_ZN9rocsparseL29bsrmmnt_small_blockdim_kernelILj64ELj32ELj2EliaaffEEv20rocsparse_direction_T3_S2_llNS_24const_host_device_scalarIT7_EEPKT2_PKS2_PKT4_PKT5_llS5_PT6_ll16rocsparse_order_21rocsparse_index_base_b
                                        ; -- End function
	.set _ZN9rocsparseL29bsrmmnt_small_blockdim_kernelILj64ELj32ELj2EliaaffEEv20rocsparse_direction_T3_S2_llNS_24const_host_device_scalarIT7_EEPKT2_PKS2_PKT4_PKT5_llS5_PT6_ll16rocsparse_order_21rocsparse_index_base_b.num_vgpr, 36
	.set _ZN9rocsparseL29bsrmmnt_small_blockdim_kernelILj64ELj32ELj2EliaaffEEv20rocsparse_direction_T3_S2_llNS_24const_host_device_scalarIT7_EEPKT2_PKS2_PKT4_PKT5_llS5_PT6_ll16rocsparse_order_21rocsparse_index_base_b.num_agpr, 0
	.set _ZN9rocsparseL29bsrmmnt_small_blockdim_kernelILj64ELj32ELj2EliaaffEEv20rocsparse_direction_T3_S2_llNS_24const_host_device_scalarIT7_EEPKT2_PKS2_PKT4_PKT5_llS5_PT6_ll16rocsparse_order_21rocsparse_index_base_b.numbered_sgpr, 26
	.set _ZN9rocsparseL29bsrmmnt_small_blockdim_kernelILj64ELj32ELj2EliaaffEEv20rocsparse_direction_T3_S2_llNS_24const_host_device_scalarIT7_EEPKT2_PKS2_PKT4_PKT5_llS5_PT6_ll16rocsparse_order_21rocsparse_index_base_b.num_named_barrier, 0
	.set _ZN9rocsparseL29bsrmmnt_small_blockdim_kernelILj64ELj32ELj2EliaaffEEv20rocsparse_direction_T3_S2_llNS_24const_host_device_scalarIT7_EEPKT2_PKS2_PKT4_PKT5_llS5_PT6_ll16rocsparse_order_21rocsparse_index_base_b.private_seg_size, 0
	.set _ZN9rocsparseL29bsrmmnt_small_blockdim_kernelILj64ELj32ELj2EliaaffEEv20rocsparse_direction_T3_S2_llNS_24const_host_device_scalarIT7_EEPKT2_PKS2_PKT4_PKT5_llS5_PT6_ll16rocsparse_order_21rocsparse_index_base_b.uses_vcc, 1
	.set _ZN9rocsparseL29bsrmmnt_small_blockdim_kernelILj64ELj32ELj2EliaaffEEv20rocsparse_direction_T3_S2_llNS_24const_host_device_scalarIT7_EEPKT2_PKS2_PKT4_PKT5_llS5_PT6_ll16rocsparse_order_21rocsparse_index_base_b.uses_flat_scratch, 0
	.set _ZN9rocsparseL29bsrmmnt_small_blockdim_kernelILj64ELj32ELj2EliaaffEEv20rocsparse_direction_T3_S2_llNS_24const_host_device_scalarIT7_EEPKT2_PKS2_PKT4_PKT5_llS5_PT6_ll16rocsparse_order_21rocsparse_index_base_b.has_dyn_sized_stack, 0
	.set _ZN9rocsparseL29bsrmmnt_small_blockdim_kernelILj64ELj32ELj2EliaaffEEv20rocsparse_direction_T3_S2_llNS_24const_host_device_scalarIT7_EEPKT2_PKS2_PKT4_PKT5_llS5_PT6_ll16rocsparse_order_21rocsparse_index_base_b.has_recursion, 0
	.set _ZN9rocsparseL29bsrmmnt_small_blockdim_kernelILj64ELj32ELj2EliaaffEEv20rocsparse_direction_T3_S2_llNS_24const_host_device_scalarIT7_EEPKT2_PKS2_PKT4_PKT5_llS5_PT6_ll16rocsparse_order_21rocsparse_index_base_b.has_indirect_call, 0
	.section	.AMDGPU.csdata,"",@progbits
; Kernel info:
; codeLenInByte = 1448
; TotalNumSgprs: 28
; NumVgprs: 36
; ScratchSize: 0
; MemoryBound: 0
; FloatMode: 240
; IeeeMode: 1
; LDSByteSize: 448 bytes/workgroup (compile time only)
; SGPRBlocks: 0
; VGPRBlocks: 2
; NumSGPRsForWavesPerEU: 28
; NumVGPRsForWavesPerEU: 36
; NamedBarCnt: 0
; Occupancy: 16
; WaveLimiterHint : 0
; COMPUTE_PGM_RSRC2:SCRATCH_EN: 0
; COMPUTE_PGM_RSRC2:USER_SGPR: 2
; COMPUTE_PGM_RSRC2:TRAP_HANDLER: 0
; COMPUTE_PGM_RSRC2:TGID_X_EN: 1
; COMPUTE_PGM_RSRC2:TGID_Y_EN: 0
; COMPUTE_PGM_RSRC2:TGID_Z_EN: 0
; COMPUTE_PGM_RSRC2:TIDIG_COMP_CNT: 0
	.section	.text._ZN9rocsparseL29bsrmmnt_small_blockdim_kernelILj64ELj64ELj2EliaaffEEv20rocsparse_direction_T3_S2_llNS_24const_host_device_scalarIT7_EEPKT2_PKS2_PKT4_PKT5_llS5_PT6_ll16rocsparse_order_21rocsparse_index_base_b,"axG",@progbits,_ZN9rocsparseL29bsrmmnt_small_blockdim_kernelILj64ELj64ELj2EliaaffEEv20rocsparse_direction_T3_S2_llNS_24const_host_device_scalarIT7_EEPKT2_PKS2_PKT4_PKT5_llS5_PT6_ll16rocsparse_order_21rocsparse_index_base_b,comdat
	.globl	_ZN9rocsparseL29bsrmmnt_small_blockdim_kernelILj64ELj64ELj2EliaaffEEv20rocsparse_direction_T3_S2_llNS_24const_host_device_scalarIT7_EEPKT2_PKS2_PKT4_PKT5_llS5_PT6_ll16rocsparse_order_21rocsparse_index_base_b ; -- Begin function _ZN9rocsparseL29bsrmmnt_small_blockdim_kernelILj64ELj64ELj2EliaaffEEv20rocsparse_direction_T3_S2_llNS_24const_host_device_scalarIT7_EEPKT2_PKS2_PKT4_PKT5_llS5_PT6_ll16rocsparse_order_21rocsparse_index_base_b
	.p2align	8
	.type	_ZN9rocsparseL29bsrmmnt_small_blockdim_kernelILj64ELj64ELj2EliaaffEEv20rocsparse_direction_T3_S2_llNS_24const_host_device_scalarIT7_EEPKT2_PKS2_PKT4_PKT5_llS5_PT6_ll16rocsparse_order_21rocsparse_index_base_b,@function
_ZN9rocsparseL29bsrmmnt_small_blockdim_kernelILj64ELj64ELj2EliaaffEEv20rocsparse_direction_T3_S2_llNS_24const_host_device_scalarIT7_EEPKT2_PKS2_PKT4_PKT5_llS5_PT6_ll16rocsparse_order_21rocsparse_index_base_b: ; @_ZN9rocsparseL29bsrmmnt_small_blockdim_kernelILj64ELj64ELj2EliaaffEEv20rocsparse_direction_T3_S2_llNS_24const_host_device_scalarIT7_EEPKT2_PKS2_PKT4_PKT5_llS5_PT6_ll16rocsparse_order_21rocsparse_index_base_b
; %bb.0:
	s_clause 0x2
	s_load_b96 s[16:18], s[0:1], 0x78
	s_load_b64 s[2:3], s[0:1], 0x20
	s_load_b64 s[24:25], s[0:1], 0x58
	s_wait_kmcnt 0x0
	s_bitcmp1_b32 s18, 0
	s_cselect_b32 s4, -1, 0
	s_delay_alu instid0(SALU_CYCLE_1)
	s_and_b32 vcc_lo, exec_lo, s4
	s_xor_b32 s4, s4, -1
	s_cbranch_vccnz .LBB100_2
; %bb.1:
	s_load_b32 s2, s[2:3], 0x0
.LBB100_2:
	s_and_not1_b32 vcc_lo, exec_lo, s4
	s_cbranch_vccnz .LBB100_4
; %bb.3:
	s_load_b32 s24, s[24:25], 0x0
.LBB100_4:
	s_wait_kmcnt 0x0
	s_cmp_eq_f32 s2, 0
	s_cselect_b32 s3, -1, 0
	s_cmp_eq_f32 s24, 1.0
	s_cselect_b32 s4, -1, 0
	s_delay_alu instid0(SALU_CYCLE_1) | instskip(NEXT) | instid1(SALU_CYCLE_1)
	s_and_b32 s3, s3, s4
	s_and_b32 vcc_lo, exec_lo, s3
	s_cbranch_vccnz .LBB100_30
; %bb.5:
	s_clause 0x1
	s_load_b32 s3, s[0:1], 0x94
	s_load_b96 s[20:22], s[0:1], 0x0
	s_bfe_u32 s4, ttmp6, 0x4000c
	s_and_b32 s5, ttmp6, 15
	s_add_co_i32 s4, s4, 1
	s_getreg_b32 s6, hwreg(HW_REG_IB_STS2, 6, 4)
	s_mul_i32 s4, ttmp9, s4
	s_delay_alu instid0(SALU_CYCLE_1) | instskip(SKIP_4) | instid1(SALU_CYCLE_1)
	s_add_co_i32 s5, s5, s4
	s_wait_kmcnt 0x0
	s_and_b32 s3, s3, 0xffff
	s_cmp_eq_u32 s6, 0
	s_cselect_b32 s4, ttmp9, s5
	v_mad_u32 v2, s4, s3, v0
	s_mov_b32 s3, exec_lo
	s_delay_alu instid0(VALU_DEP_1) | instskip(NEXT) | instid1(VALU_DEP_1)
	v_lshrrev_b32_e32 v1, 7, v2
	v_cmpx_gt_i32_e64 s21, v1
	s_cbranch_execz .LBB100_30
; %bb.6:
	s_cmp_lt_i32 s22, 1
	s_cbranch_scc1 .LBB100_30
; %bb.7:
	s_load_b256 s[4:11], s[0:1], 0x28
	v_dual_lshlrev_b32 v1, 3, v1 :: v_dual_lshrrev_b32 v4, 6, v2
	s_load_b128 s[12:15], s[0:1], 0x60
	s_cmp_neq_f32 s24, 0
	v_mul_u32_u24_e32 v16, 3, v0
	s_mov_b32 s19, 0
	s_mov_b32 s18, s17
	s_cselect_b32 s3, -1, 0
	s_cmp_lg_u32 s16, 1
	v_add_nc_u32_e32 v21, 0x100, v16
	s_cselect_b32 s16, -1, 0
	s_cmp_eq_u32 s20, 0
	s_wait_kmcnt 0x0
	global_load_b128 v[8:11], v1, s[4:5]
	s_wait_xcnt 0x0
	v_mov_b32_e32 v1, 0
	s_load_b64 s[4:5], s[0:1], 0x48
	s_wait_xcnt 0x0
	s_cselect_b32 s1, -1, 0
	s_delay_alu instid0(VALU_DEP_1) | instskip(NEXT) | instid1(VALU_DEP_1)
	v_mov_b32_e32 v5, v1
	v_mul_u64_e32 v[12:13], s[14:15], v[4:5]
	v_bfe_u32 v5, v2, 6, 1
	v_lshlrev_b32_e32 v2, 2, v4
	v_cndmask_b32_e64 v4, 0, 1, s1
	v_dual_mov_b32 v3, v1 :: v_dual_lshlrev_b32 v20, 2, v0
	v_mov_b32_e32 v15, v1
	s_and_b32 s1, s1, exec_lo
	s_delay_alu instid0(VALU_DEP_3) | instskip(NEXT) | instid1(VALU_DEP_3)
	v_lshlrev_b32_e32 v14, v4, v5
	v_add_nc_u64_e32 v[2:3], s[12:13], v[2:3]
	s_wait_loadcnt 0x0
	v_sub_nc_u64_e64 v[4:5], v[8:9], s[18:19]
	v_sub_nc_u64_e64 v[6:7], v[10:11], s[18:19]
	v_cmp_lt_i64_e64 s0, v[8:9], v[10:11]
	v_add_nc_u64_e32 v[8:9], s[8:9], v[14:15]
	v_lshl_add_u64 v[10:11], v[12:13], 2, s[12:13]
	s_cselect_b32 s18, 1, 2
	s_mov_b32 s8, s19
	s_branch .LBB100_9
.LBB100_8:                              ;   in Loop: Header=BB100_9 Depth=1
	s_wait_xcnt 0x0
	s_or_b32 exec_lo, exec_lo, s1
	s_add_co_i32 s8, s8, 64
	s_delay_alu instid0(SALU_CYCLE_1)
	s_cmp_lt_i32 s8, s22
	s_cbranch_scc0 .LBB100_30
.LBB100_9:                              ; =>This Loop Header: Depth=1
                                        ;     Child Loop BB100_12 Depth 2
                                        ;       Child Loop BB100_16 Depth 3
	v_dual_mov_b32 v22, 0 :: v_dual_bitop2_b32 v12, s8, v0 bitop3:0x54
	s_delay_alu instid0(VALU_DEP_1)
	v_ashrrev_i32_e32 v13, 31, v12
	s_and_saveexec_b32 s9, s0
	s_cbranch_execz .LBB100_18
; %bb.10:                               ;   in Loop: Header=BB100_9 Depth=1
	s_delay_alu instid0(VALU_DEP_1)
	v_add_nc_u64_e32 v[14:15], s[10:11], v[12:13]
	v_mov_b64_e32 v[16:17], v[4:5]
	v_mov_b32_e32 v22, 0
	s_mov_b32 s12, 0
	v_cmp_gt_i32_e32 vcc_lo, s22, v12
	s_branch .LBB100_12
.LBB100_11:                             ;   in Loop: Header=BB100_12 Depth=2
	s_wait_xcnt 0x0
	s_or_b32 exec_lo, exec_lo, s1
	v_add_nc_u64_e32 v[16:17], 64, v[16:17]
	s_delay_alu instid0(VALU_DEP_1) | instskip(SKIP_1) | instid1(SALU_CYCLE_1)
	v_cmp_ge_i64_e64 s1, v[16:17], v[6:7]
	s_or_b32 s12, s1, s12
	s_and_not1_b32 exec_lo, exec_lo, s12
	s_cbranch_execz .LBB100_17
.LBB100_12:                             ;   Parent Loop BB100_9 Depth=1
                                        ; =>  This Loop Header: Depth=2
                                        ;       Child Loop BB100_16 Depth 3
	s_delay_alu instid0(VALU_DEP_3) | instskip(SKIP_3) | instid1(VALU_DEP_3)
	v_add_nc_u64_e32 v[18:19], v[16:17], v[0:1]
	v_dual_mov_b32 v25, 0 :: v_dual_mov_b32 v23, 0
	v_mov_b32_e32 v24, 0
	s_mov_b32 s13, exec_lo
	v_cmpx_lt_i64_e64 v[18:19], v[6:7]
	s_cbranch_execz .LBB100_14
; %bb.13:                               ;   in Loop: Header=BB100_12 Depth=2
	v_lshlrev_b64_e32 v[18:19], 2, v[18:19]
	s_delay_alu instid0(VALU_DEP_1)
	v_add_nc_u64_e32 v[24:25], s[6:7], v[18:19]
	v_add_nc_u64_e32 v[18:19], v[8:9], v[18:19]
	global_load_b32 v25, v[24:25], off
	v_add_nc_u64_e32 v[26:27], s[18:19], v[18:19]
	s_clause 0x1
	global_load_u8 v23, v[18:19], off
	global_load_u8 v24, v[26:27], off
	s_wait_loadcnt 0x2
	s_wait_xcnt 0x1
	v_subrev_nc_u32_e32 v18, s17, v25
	s_delay_alu instid0(VALU_DEP_1)
	v_lshlrev_b32_e32 v25, 1, v18
.LBB100_14:                             ;   in Loop: Header=BB100_12 Depth=2
	s_wait_xcnt 0x0
	s_or_b32 exec_lo, exec_lo, s13
	ds_store_b32 v20, v25
	s_wait_loadcnt 0x1
	ds_store_b8 v21, v23
	s_wait_loadcnt 0x0
	ds_store_b8 v21, v24 offset:1
	s_wait_dscnt 0x0
	s_barrier_signal -1
	s_barrier_wait -1
	s_and_saveexec_b32 s1, vcc_lo
	s_cbranch_execz .LBB100_11
; %bb.15:                               ;   in Loop: Header=BB100_12 Depth=2
	v_mov_b32_e32 v18, 0x100
	s_mov_b32 s13, 0
.LBB100_16:                             ;   Parent Loop BB100_9 Depth=1
                                        ;     Parent Loop BB100_12 Depth=2
                                        ; =>    This Inner Loop Header: Depth=3
	s_delay_alu instid0(SALU_CYCLE_1)
	v_mov_b32_e32 v19, s13
	s_add_co_i32 s13, s13, 8
	ds_load_b64 v[24:25], v19
	s_wait_dscnt 0x0
	v_readfirstlane_b32 s20, v24
	v_readfirstlane_b32 s21, v25
	s_wait_kmcnt 0x0
	s_delay_alu instid0(VALU_DEP_2)
	v_mad_nc_u64_u32 v[24:25], s4, s20, v[14:15]
	s_ashr_i32 s23, s20, 31
	s_mul_i32 s25, s5, s20
	s_add_co_i32 s20, s20, 1
	s_mul_i32 s23, s4, s23
	v_mad_nc_u64_u32 v[28:29], s4, s20, v[14:15]
	s_ashr_i32 s26, s21, 31
	v_mad_nc_u64_u32 v[26:27], s4, s21, v[14:15]
	s_mul_i32 s27, s5, s21
	s_add_co_i32 s21, s21, 1
	s_ashr_i32 s28, s20, 31
	v_add3_u32 v25, s23, s25, v25
	s_wait_xcnt 0x0
	v_mad_nc_u64_u32 v[30:31], s4, s21, v[14:15]
	s_mul_i32 s20, s5, s20
	s_mul_i32 s23, s4, s28
	;; [unrolled: 1-line block ×3, first 2 shown]
	v_add3_u32 v29, s23, s20, v29
	global_load_i8 v19, v[24:25], off
	s_ashr_i32 s20, s21, 31
	s_mul_i32 s21, s5, s21
	s_mul_i32 s20, s4, s20
	global_load_i8 v23, v[28:29], off
	v_add3_u32 v27, s26, s27, v27
	v_add3_u32 v31, s20, s21, v31
	s_clause 0x1
	global_load_i8 v24, v[26:27], off
	global_load_i8 v25, v[30:31], off
	s_wait_xcnt 0x1
	ds_load_u16 v26, v18
	ds_load_i8 v27, v18 offset:3
	ds_load_i8 v28, v18 offset:4
	s_cmp_lg_u32 s13, 0x100
	v_add_nc_u32_e32 v18, 6, v18
	s_wait_dscnt 0x2
	v_bfe_i32 v29, v26, 0, 8
	v_ashrrev_i16 v26, 8, v26
	s_delay_alu instid0(VALU_DEP_2) | instskip(NEXT) | instid1(VALU_DEP_2)
	v_bfe_i32 v29, v29, 0, 16
	v_bfe_i32 v26, v26, 0, 16
	s_delay_alu instid0(VALU_DEP_2) | instskip(NEXT) | instid1(VALU_DEP_2)
	v_cvt_f32_i32_e32 v29, v29
	v_cvt_f32_i32_e32 v26, v26
	s_wait_loadcnt 0x3
	v_cvt_f32_i32_e32 v19, v19
	s_wait_loadcnt 0x2
	v_cvt_f32_i32_e32 v23, v23
	s_delay_alu instid0(VALU_DEP_2)
	v_fmac_f32_e32 v22, v29, v19
	s_wait_dscnt 0x1
	v_cvt_f32_i32_e32 v19, v27
	s_wait_loadcnt 0x1
	v_cvt_f32_i32_e32 v24, v24
	v_fmac_f32_e32 v22, v26, v23
	s_wait_dscnt 0x0
	v_cvt_f32_i32_e32 v23, v28
	s_wait_loadcnt 0x0
	v_cvt_f32_i32_e32 v25, v25
	v_fmac_f32_e32 v22, v19, v24
	s_delay_alu instid0(VALU_DEP_1)
	v_fmac_f32_e32 v22, v23, v25
	s_cbranch_scc1 .LBB100_16
	s_branch .LBB100_11
.LBB100_17:                             ;   in Loop: Header=BB100_9 Depth=1
	s_or_b32 exec_lo, exec_lo, s12
.LBB100_18:                             ;   in Loop: Header=BB100_9 Depth=1
	s_delay_alu instid0(SALU_CYCLE_1) | instskip(NEXT) | instid1(SALU_CYCLE_1)
	s_or_b32 exec_lo, exec_lo, s9
	s_mov_b32 s1, exec_lo
	v_cmpx_gt_i32_e64 s22, v12
	s_cbranch_execz .LBB100_8
; %bb.19:                               ;   in Loop: Header=BB100_9 Depth=1
	s_and_b32 vcc_lo, exec_lo, s3
	s_cbranch_vccz .LBB100_25
; %bb.20:                               ;   in Loop: Header=BB100_9 Depth=1
	s_and_b32 vcc_lo, exec_lo, s16
	s_mov_b32 s9, -1
	s_cbranch_vccz .LBB100_22
; %bb.21:                               ;   in Loop: Header=BB100_9 Depth=1
	v_lshl_add_u64 v[14:15], v[12:13], 2, v[10:11]
	v_mul_f32_e32 v17, s2, v22
	s_mov_b32 s9, 0
	global_load_b32 v16, v[14:15], off
	s_wait_loadcnt 0x0
	v_fmac_f32_e32 v17, s24, v16
	global_store_b32 v[14:15], v17, off
.LBB100_22:                             ;   in Loop: Header=BB100_9 Depth=1
	s_and_not1_b32 vcc_lo, exec_lo, s9
	s_cbranch_vccnz .LBB100_24
; %bb.23:                               ;   in Loop: Header=BB100_9 Depth=1
	s_wait_xcnt 0x0
	v_mul_u64_e32 v[14:15], s[14:15], v[12:13]
	v_mul_f32_e32 v17, s2, v22
	s_delay_alu instid0(VALU_DEP_2)
	v_lshl_add_u64 v[14:15], v[14:15], 2, v[2:3]
	global_load_b32 v16, v[14:15], off
	s_wait_loadcnt 0x0
	v_fmac_f32_e32 v17, s24, v16
	global_store_b32 v[14:15], v17, off
.LBB100_24:                             ;   in Loop: Header=BB100_9 Depth=1
	s_cbranch_execnz .LBB100_8
	s_branch .LBB100_26
.LBB100_25:                             ;   in Loop: Header=BB100_9 Depth=1
.LBB100_26:                             ;   in Loop: Header=BB100_9 Depth=1
	s_wait_xcnt 0x0
	v_mul_f32_e32 v14, s2, v22
	s_and_b32 vcc_lo, exec_lo, s16
	s_mov_b32 s9, -1
	s_cbranch_vccz .LBB100_28
; %bb.27:                               ;   in Loop: Header=BB100_9 Depth=1
	v_lshl_add_u64 v[16:17], v[12:13], 2, v[10:11]
	s_mov_b32 s9, 0
	global_store_b32 v[16:17], v14, off
.LBB100_28:                             ;   in Loop: Header=BB100_9 Depth=1
	s_and_not1_b32 vcc_lo, exec_lo, s9
	s_cbranch_vccnz .LBB100_8
; %bb.29:                               ;   in Loop: Header=BB100_9 Depth=1
	v_mul_u64_e32 v[12:13], s[14:15], v[12:13]
	s_delay_alu instid0(VALU_DEP_1)
	v_lshl_add_u64 v[12:13], v[12:13], 2, v[2:3]
	global_store_b32 v[12:13], v14, off
	s_branch .LBB100_8
.LBB100_30:
	s_endpgm
	.section	.rodata,"a",@progbits
	.p2align	6, 0x0
	.amdhsa_kernel _ZN9rocsparseL29bsrmmnt_small_blockdim_kernelILj64ELj64ELj2EliaaffEEv20rocsparse_direction_T3_S2_llNS_24const_host_device_scalarIT7_EEPKT2_PKS2_PKT4_PKT5_llS5_PT6_ll16rocsparse_order_21rocsparse_index_base_b
		.amdhsa_group_segment_fixed_size 448
		.amdhsa_private_segment_fixed_size 0
		.amdhsa_kernarg_size 392
		.amdhsa_user_sgpr_count 2
		.amdhsa_user_sgpr_dispatch_ptr 0
		.amdhsa_user_sgpr_queue_ptr 0
		.amdhsa_user_sgpr_kernarg_segment_ptr 1
		.amdhsa_user_sgpr_dispatch_id 0
		.amdhsa_user_sgpr_kernarg_preload_length 0
		.amdhsa_user_sgpr_kernarg_preload_offset 0
		.amdhsa_user_sgpr_private_segment_size 0
		.amdhsa_wavefront_size32 1
		.amdhsa_uses_dynamic_stack 0
		.amdhsa_enable_private_segment 0
		.amdhsa_system_sgpr_workgroup_id_x 1
		.amdhsa_system_sgpr_workgroup_id_y 0
		.amdhsa_system_sgpr_workgroup_id_z 0
		.amdhsa_system_sgpr_workgroup_info 0
		.amdhsa_system_vgpr_workitem_id 0
		.amdhsa_next_free_vgpr 32
		.amdhsa_next_free_sgpr 29
		.amdhsa_named_barrier_count 0
		.amdhsa_reserve_vcc 1
		.amdhsa_float_round_mode_32 0
		.amdhsa_float_round_mode_16_64 0
		.amdhsa_float_denorm_mode_32 3
		.amdhsa_float_denorm_mode_16_64 3
		.amdhsa_fp16_overflow 0
		.amdhsa_memory_ordered 1
		.amdhsa_forward_progress 1
		.amdhsa_inst_pref_size 11
		.amdhsa_round_robin_scheduling 0
		.amdhsa_exception_fp_ieee_invalid_op 0
		.amdhsa_exception_fp_denorm_src 0
		.amdhsa_exception_fp_ieee_div_zero 0
		.amdhsa_exception_fp_ieee_overflow 0
		.amdhsa_exception_fp_ieee_underflow 0
		.amdhsa_exception_fp_ieee_inexact 0
		.amdhsa_exception_int_div_zero 0
	.end_amdhsa_kernel
	.section	.text._ZN9rocsparseL29bsrmmnt_small_blockdim_kernelILj64ELj64ELj2EliaaffEEv20rocsparse_direction_T3_S2_llNS_24const_host_device_scalarIT7_EEPKT2_PKS2_PKT4_PKT5_llS5_PT6_ll16rocsparse_order_21rocsparse_index_base_b,"axG",@progbits,_ZN9rocsparseL29bsrmmnt_small_blockdim_kernelILj64ELj64ELj2EliaaffEEv20rocsparse_direction_T3_S2_llNS_24const_host_device_scalarIT7_EEPKT2_PKS2_PKT4_PKT5_llS5_PT6_ll16rocsparse_order_21rocsparse_index_base_b,comdat
.Lfunc_end100:
	.size	_ZN9rocsparseL29bsrmmnt_small_blockdim_kernelILj64ELj64ELj2EliaaffEEv20rocsparse_direction_T3_S2_llNS_24const_host_device_scalarIT7_EEPKT2_PKS2_PKT4_PKT5_llS5_PT6_ll16rocsparse_order_21rocsparse_index_base_b, .Lfunc_end100-_ZN9rocsparseL29bsrmmnt_small_blockdim_kernelILj64ELj64ELj2EliaaffEEv20rocsparse_direction_T3_S2_llNS_24const_host_device_scalarIT7_EEPKT2_PKS2_PKT4_PKT5_llS5_PT6_ll16rocsparse_order_21rocsparse_index_base_b
                                        ; -- End function
	.set _ZN9rocsparseL29bsrmmnt_small_blockdim_kernelILj64ELj64ELj2EliaaffEEv20rocsparse_direction_T3_S2_llNS_24const_host_device_scalarIT7_EEPKT2_PKS2_PKT4_PKT5_llS5_PT6_ll16rocsparse_order_21rocsparse_index_base_b.num_vgpr, 32
	.set _ZN9rocsparseL29bsrmmnt_small_blockdim_kernelILj64ELj64ELj2EliaaffEEv20rocsparse_direction_T3_S2_llNS_24const_host_device_scalarIT7_EEPKT2_PKS2_PKT4_PKT5_llS5_PT6_ll16rocsparse_order_21rocsparse_index_base_b.num_agpr, 0
	.set _ZN9rocsparseL29bsrmmnt_small_blockdim_kernelILj64ELj64ELj2EliaaffEEv20rocsparse_direction_T3_S2_llNS_24const_host_device_scalarIT7_EEPKT2_PKS2_PKT4_PKT5_llS5_PT6_ll16rocsparse_order_21rocsparse_index_base_b.numbered_sgpr, 29
	.set _ZN9rocsparseL29bsrmmnt_small_blockdim_kernelILj64ELj64ELj2EliaaffEEv20rocsparse_direction_T3_S2_llNS_24const_host_device_scalarIT7_EEPKT2_PKS2_PKT4_PKT5_llS5_PT6_ll16rocsparse_order_21rocsparse_index_base_b.num_named_barrier, 0
	.set _ZN9rocsparseL29bsrmmnt_small_blockdim_kernelILj64ELj64ELj2EliaaffEEv20rocsparse_direction_T3_S2_llNS_24const_host_device_scalarIT7_EEPKT2_PKS2_PKT4_PKT5_llS5_PT6_ll16rocsparse_order_21rocsparse_index_base_b.private_seg_size, 0
	.set _ZN9rocsparseL29bsrmmnt_small_blockdim_kernelILj64ELj64ELj2EliaaffEEv20rocsparse_direction_T3_S2_llNS_24const_host_device_scalarIT7_EEPKT2_PKS2_PKT4_PKT5_llS5_PT6_ll16rocsparse_order_21rocsparse_index_base_b.uses_vcc, 1
	.set _ZN9rocsparseL29bsrmmnt_small_blockdim_kernelILj64ELj64ELj2EliaaffEEv20rocsparse_direction_T3_S2_llNS_24const_host_device_scalarIT7_EEPKT2_PKS2_PKT4_PKT5_llS5_PT6_ll16rocsparse_order_21rocsparse_index_base_b.uses_flat_scratch, 0
	.set _ZN9rocsparseL29bsrmmnt_small_blockdim_kernelILj64ELj64ELj2EliaaffEEv20rocsparse_direction_T3_S2_llNS_24const_host_device_scalarIT7_EEPKT2_PKS2_PKT4_PKT5_llS5_PT6_ll16rocsparse_order_21rocsparse_index_base_b.has_dyn_sized_stack, 0
	.set _ZN9rocsparseL29bsrmmnt_small_blockdim_kernelILj64ELj64ELj2EliaaffEEv20rocsparse_direction_T3_S2_llNS_24const_host_device_scalarIT7_EEPKT2_PKS2_PKT4_PKT5_llS5_PT6_ll16rocsparse_order_21rocsparse_index_base_b.has_recursion, 0
	.set _ZN9rocsparseL29bsrmmnt_small_blockdim_kernelILj64ELj64ELj2EliaaffEEv20rocsparse_direction_T3_S2_llNS_24const_host_device_scalarIT7_EEPKT2_PKS2_PKT4_PKT5_llS5_PT6_ll16rocsparse_order_21rocsparse_index_base_b.has_indirect_call, 0
	.section	.AMDGPU.csdata,"",@progbits
; Kernel info:
; codeLenInByte = 1400
; TotalNumSgprs: 31
; NumVgprs: 32
; ScratchSize: 0
; MemoryBound: 0
; FloatMode: 240
; IeeeMode: 1
; LDSByteSize: 448 bytes/workgroup (compile time only)
; SGPRBlocks: 0
; VGPRBlocks: 1
; NumSGPRsForWavesPerEU: 31
; NumVGPRsForWavesPerEU: 32
; NamedBarCnt: 0
; Occupancy: 16
; WaveLimiterHint : 0
; COMPUTE_PGM_RSRC2:SCRATCH_EN: 0
; COMPUTE_PGM_RSRC2:USER_SGPR: 2
; COMPUTE_PGM_RSRC2:TRAP_HANDLER: 0
; COMPUTE_PGM_RSRC2:TGID_X_EN: 1
; COMPUTE_PGM_RSRC2:TGID_Y_EN: 0
; COMPUTE_PGM_RSRC2:TGID_Z_EN: 0
; COMPUTE_PGM_RSRC2:TIDIG_COMP_CNT: 0
	.section	.text._ZN9rocsparseL29bsrmmnt_small_blockdim_kernelILj64ELj8ELj2EllaaffEEv20rocsparse_direction_T3_S2_llNS_24const_host_device_scalarIT7_EEPKT2_PKS2_PKT4_PKT5_llS5_PT6_ll16rocsparse_order_21rocsparse_index_base_b,"axG",@progbits,_ZN9rocsparseL29bsrmmnt_small_blockdim_kernelILj64ELj8ELj2EllaaffEEv20rocsparse_direction_T3_S2_llNS_24const_host_device_scalarIT7_EEPKT2_PKS2_PKT4_PKT5_llS5_PT6_ll16rocsparse_order_21rocsparse_index_base_b,comdat
	.globl	_ZN9rocsparseL29bsrmmnt_small_blockdim_kernelILj64ELj8ELj2EllaaffEEv20rocsparse_direction_T3_S2_llNS_24const_host_device_scalarIT7_EEPKT2_PKS2_PKT4_PKT5_llS5_PT6_ll16rocsparse_order_21rocsparse_index_base_b ; -- Begin function _ZN9rocsparseL29bsrmmnt_small_blockdim_kernelILj64ELj8ELj2EllaaffEEv20rocsparse_direction_T3_S2_llNS_24const_host_device_scalarIT7_EEPKT2_PKS2_PKT4_PKT5_llS5_PT6_ll16rocsparse_order_21rocsparse_index_base_b
	.p2align	8
	.type	_ZN9rocsparseL29bsrmmnt_small_blockdim_kernelILj64ELj8ELj2EllaaffEEv20rocsparse_direction_T3_S2_llNS_24const_host_device_scalarIT7_EEPKT2_PKS2_PKT4_PKT5_llS5_PT6_ll16rocsparse_order_21rocsparse_index_base_b,@function
_ZN9rocsparseL29bsrmmnt_small_blockdim_kernelILj64ELj8ELj2EllaaffEEv20rocsparse_direction_T3_S2_llNS_24const_host_device_scalarIT7_EEPKT2_PKS2_PKT4_PKT5_llS5_PT6_ll16rocsparse_order_21rocsparse_index_base_b: ; @_ZN9rocsparseL29bsrmmnt_small_blockdim_kernelILj64ELj8ELj2EllaaffEEv20rocsparse_direction_T3_S2_llNS_24const_host_device_scalarIT7_EEPKT2_PKS2_PKT4_PKT5_llS5_PT6_ll16rocsparse_order_21rocsparse_index_base_b
; %bb.0:
	s_clause 0x2
	s_load_b96 s[20:22], s[0:1], 0x80
	s_load_b64 s[2:3], s[0:1], 0x28
	s_load_b64 s[24:25], s[0:1], 0x60
	s_wait_kmcnt 0x0
	s_bitcmp1_b32 s22, 0
	s_cselect_b32 s4, -1, 0
	s_delay_alu instid0(SALU_CYCLE_1)
	s_and_b32 vcc_lo, exec_lo, s4
	s_xor_b32 s4, s4, -1
	s_cbranch_vccnz .LBB101_2
; %bb.1:
	s_load_b32 s2, s[2:3], 0x0
.LBB101_2:
	s_and_not1_b32 vcc_lo, exec_lo, s4
	s_cbranch_vccnz .LBB101_4
; %bb.3:
	s_load_b32 s24, s[24:25], 0x0
.LBB101_4:
	s_wait_kmcnt 0x0
	s_cmp_eq_f32 s2, 0
	s_cselect_b32 s3, -1, 0
	s_cmp_eq_f32 s24, 1.0
	s_cselect_b32 s4, -1, 0
	s_delay_alu instid0(SALU_CYCLE_1) | instskip(NEXT) | instid1(SALU_CYCLE_1)
	s_and_b32 s3, s3, s4
	s_and_b32 vcc_lo, exec_lo, s3
	s_cbranch_vccnz .LBB101_30
; %bb.5:
	s_clause 0x1
	s_load_b32 s3, s[0:1], 0x9c
	s_load_b128 s[12:15], s[0:1], 0x8
	s_bfe_u32 s4, ttmp6, 0x4000c
	s_and_b32 s5, ttmp6, 15
	s_add_co_i32 s4, s4, 1
	s_getreg_b32 s6, hwreg(HW_REG_IB_STS2, 6, 4)
	s_mul_i32 s4, ttmp9, s4
	s_delay_alu instid0(SALU_CYCLE_1) | instskip(SKIP_4) | instid1(SALU_CYCLE_1)
	s_add_co_i32 s5, s5, s4
	s_wait_kmcnt 0x0
	s_and_b32 s3, s3, 0xffff
	s_cmp_eq_u32 s6, 0
	s_cselect_b32 s4, ttmp9, s5
	v_mad_u32 v1, s4, s3, v0
	v_mov_b32_e32 v3, 0
	s_mov_b32 s3, exec_lo
	s_delay_alu instid0(VALU_DEP_2) | instskip(NEXT) | instid1(VALU_DEP_1)
	v_lshrrev_b32_e32 v2, 4, v1
	v_cmpx_gt_i64_e64 s[12:13], v[2:3]
	s_cbranch_execz .LBB101_30
; %bb.6:
	v_cmp_lt_i64_e64 s3, s[14:15], 1
	s_and_b32 vcc_lo, exec_lo, s3
	s_cbranch_vccnz .LBB101_30
; %bb.7:
	s_load_b256 s[4:11], s[0:1], 0x30
	v_dual_mov_b32 v3, 0 :: v_dual_lshlrev_b32 v2, 3, v2
	s_load_b128 s[16:19], s[0:1], 0x68
	v_bfe_u32 v6, v1, 3, 1
	s_mov_b32 s13, 0
	s_mov_b32 s12, s21
	v_dual_lshrrev_b32 v8, 3, v0 :: v_dual_bitop2_b32 v0, 7, v0 bitop3:0x40
	s_delay_alu instid0(VALU_DEP_1) | instskip(SKIP_1) | instid1(VALU_DEP_3)
	v_dual_mov_b32 v7, v3 :: v_dual_lshlrev_b32 v22, 6, v8
	v_mul_u32_u24_e32 v8, 24, v8
	v_mul_u32_u24_e32 v16, 3, v0
	s_delay_alu instid0(VALU_DEP_2)
	v_or_b32_e32 v24, 0x200, v8
	s_wait_kmcnt 0x0
	global_load_b128 v[10:13], v2, s[4:5]
	s_wait_xcnt 0x0
	v_lshrrev_b32_e32 v2, 3, v1
	s_clause 0x1
	s_load_b32 s3, s[0:1], 0x0
	s_load_b64 s[4:5], s[0:1], 0x50
	v_mov_b32_e32 v1, v3
	v_lshl_or_b32 v23, v0, 3, v22
	v_add_nc_u32_e32 v25, v24, v16
	v_mul_u64_e32 v[4:5], s[18:19], v[2:3]
	v_lshlrev_b32_e32 v2, 2, v2
	s_delay_alu instid0(VALU_DEP_1)
	v_add_nc_u64_e32 v[2:3], s[16:17], v[2:3]
	s_wait_kmcnt 0x0
	s_cmp_eq_u32 s3, 0
	s_cselect_b32 s1, -1, 0
	s_cmp_neq_f32 s24, 0
	v_cndmask_b32_e64 v9, 0, 1, s1
	s_cselect_b32 s3, -1, 0
	s_cmp_lg_u32 s20, 1
	s_delay_alu instid0(VALU_DEP_1)
	v_lshlrev_b64_e32 v[14:15], v9, v[6:7]
	s_cselect_b32 s20, -1, 0
	s_and_b32 s1, s1, exec_lo
	v_lshl_add_u64 v[4:5], v[4:5], 2, s[16:17]
	s_mov_b64 s[16:17], 0
	s_wait_loadcnt 0x0
	v_sub_nc_u64_e64 v[6:7], v[10:11], s[12:13]
	v_sub_nc_u64_e64 v[8:9], v[12:13], s[12:13]
	v_cmp_lt_i64_e64 s0, v[10:11], v[12:13]
	v_add_nc_u64_e32 v[10:11], s[8:9], v[14:15]
	s_cselect_b32 s8, 1, 2
	s_mov_b32 s9, s13
	s_branch .LBB101_9
.LBB101_8:                              ;   in Loop: Header=BB101_9 Depth=1
	s_wait_xcnt 0x0
	s_or_b32 exec_lo, exec_lo, s1
	s_add_nc_u64 s[16:17], s[16:17], 8
	s_delay_alu instid0(SALU_CYCLE_1)
	v_cmp_lt_i64_e64 s1, s[16:17], s[14:15]
	s_and_b32 vcc_lo, exec_lo, s1
	s_cbranch_vccz .LBB101_30
.LBB101_9:                              ; =>This Loop Header: Depth=1
                                        ;     Child Loop BB101_12 Depth 2
                                        ;       Child Loop BB101_16 Depth 3
	v_dual_mov_b32 v13, s17 :: v_dual_bitop2_b32 v12, s16, v0 bitop3:0x54
	v_mov_b32_e32 v26, 0
	s_and_saveexec_b32 s21, s0
	s_cbranch_execz .LBB101_18
; %bb.10:                               ;   in Loop: Header=BB101_9 Depth=1
	s_delay_alu instid0(VALU_DEP_2)
	v_add_nc_u64_e32 v[14:15], s[10:11], v[12:13]
	v_mov_b64_e32 v[16:17], v[6:7]
	v_mov_b32_e32 v26, 0
	s_mov_b32 s22, 0
	v_cmp_gt_i64_e32 vcc_lo, s[14:15], v[12:13]
	s_branch .LBB101_12
.LBB101_11:                             ;   in Loop: Header=BB101_12 Depth=2
	s_or_b32 exec_lo, exec_lo, s1
	v_add_nc_u64_e32 v[16:17], 8, v[16:17]
	s_delay_alu instid0(VALU_DEP_1) | instskip(SKIP_1) | instid1(SALU_CYCLE_1)
	v_cmp_ge_i64_e64 s1, v[16:17], v[8:9]
	s_or_b32 s22, s1, s22
	s_and_not1_b32 exec_lo, exec_lo, s22
	s_cbranch_execz .LBB101_17
.LBB101_12:                             ;   Parent Loop BB101_9 Depth=1
                                        ; =>  This Loop Header: Depth=2
                                        ;       Child Loop BB101_16 Depth 3
	s_delay_alu instid0(VALU_DEP_3) | instskip(SKIP_3) | instid1(VALU_DEP_3)
	v_add_nc_u64_e32 v[20:21], v[16:17], v[0:1]
	v_mov_b64_e32 v[18:19], 0
	v_dual_mov_b32 v27, 0 :: v_dual_mov_b32 v28, 0
	s_mov_b32 s23, exec_lo
	v_cmpx_lt_i64_e64 v[20:21], v[8:9]
	s_cbranch_execz .LBB101_14
; %bb.13:                               ;   in Loop: Header=BB101_12 Depth=2
	v_lshl_add_u64 v[18:19], v[20:21], 3, s[6:7]
	v_lshl_add_u64 v[20:21], v[20:21], 2, v[10:11]
	global_load_b64 v[18:19], v[18:19], off
	v_add_nc_u64_e32 v[30:31], s[8:9], v[20:21]
	s_clause 0x1
	global_load_u8 v27, v[20:21], off
	global_load_u8 v28, v[30:31], off
	s_wait_loadcnt 0x2
	s_wait_xcnt 0x2
	v_sub_nc_u64_e64 v[18:19], v[18:19], s[12:13]
	s_delay_alu instid0(VALU_DEP_1)
	v_lshlrev_b64_e32 v[18:19], 1, v[18:19]
.LBB101_14:                             ;   in Loop: Header=BB101_12 Depth=2
	s_wait_xcnt 0x0
	s_or_b32 exec_lo, exec_lo, s23
	ds_store_b64 v23, v[18:19]
	s_wait_loadcnt 0x1
	ds_store_b8 v25, v27
	s_wait_loadcnt 0x0
	ds_store_b8 v25, v28 offset:1
	s_wait_dscnt 0x0
	s_barrier_signal -1
	s_barrier_wait -1
	s_and_saveexec_b32 s1, vcc_lo
	s_cbranch_execz .LBB101_11
; %bb.15:                               ;   in Loop: Header=BB101_12 Depth=2
	v_mov_b32_e32 v18, v22
	s_mov_b32 s23, 0
.LBB101_16:                             ;   Parent Loop BB101_9 Depth=1
                                        ;     Parent Loop BB101_12 Depth=2
                                        ; =>    This Inner Loop Header: Depth=3
	ds_load_b128 v[28:31], v18
	v_add_nc_u32_e32 v18, 16, v18
	s_wait_dscnt 0x0
	v_mad_nc_u64_u32 v[20:21], v28, s4, v[14:15]
	v_mad_nc_u64_u32 v[32:33], v30, s4, v[14:15]
	s_delay_alu instid0(VALU_DEP_2) | instskip(NEXT) | instid1(VALU_DEP_2)
	v_mad_u32 v19, v29, s4, v21
	v_mad_u32 v27, v31, s4, v33
	s_delay_alu instid0(VALU_DEP_2) | instskip(NEXT) | instid1(VALU_DEP_2)
	v_mad_u32 v21, v28, s5, v19
	v_mad_u32 v33, v30, s5, v27
	s_delay_alu instid0(VALU_DEP_2)
	v_add_nc_u64_e32 v[28:29], s[4:5], v[20:21]
	s_clause 0x1
	global_load_i8 v19, v[20:21], off
	global_load_i8 v27, v[28:29], off
	s_wait_xcnt 0x1
	v_add_nc_u64_e32 v[20:21], s[4:5], v[32:33]
	s_clause 0x1
	global_load_i8 v28, v[32:33], off
	global_load_i8 v29, v[20:21], off
	s_wait_loadcnt 0x3
	v_cvt_f32_i32_e32 v19, v19
	s_wait_xcnt 0x0
	v_add_nc_u32_e32 v20, s23, v24
	ds_load_u16 v21, v20
	ds_load_i8 v30, v20 offset:3
	ds_load_i8 v20, v20 offset:4
	s_wait_loadcnt 0x1
	v_cvt_f32_i32_e32 v28, v28
	s_add_co_i32 s23, s23, 6
	s_delay_alu instid0(SALU_CYCLE_1) | instskip(SKIP_3) | instid1(VALU_DEP_2)
	s_cmp_lg_u32 s23, 24
	s_wait_dscnt 0x2
	v_bfe_i32 v31, v21, 0, 8
	v_ashrrev_i16 v21, 8, v21
	v_bfe_i32 v31, v31, 0, 16
	s_delay_alu instid0(VALU_DEP_2) | instskip(NEXT) | instid1(VALU_DEP_2)
	v_bfe_i32 v21, v21, 0, 16
	v_cvt_f32_i32_e32 v31, v31
	s_delay_alu instid0(VALU_DEP_2) | instskip(NEXT) | instid1(VALU_DEP_2)
	v_cvt_f32_i32_e32 v21, v21
	v_fmac_f32_e32 v26, v31, v19
	v_cvt_f32_i32_e32 v19, v27
	s_wait_dscnt 0x1
	v_cvt_f32_i32_e32 v27, v30
	s_delay_alu instid0(VALU_DEP_2)
	v_fmac_f32_e32 v26, v21, v19
	s_wait_dscnt 0x0
	v_cvt_f32_i32_e32 v19, v20
	s_wait_loadcnt 0x0
	v_cvt_f32_i32_e32 v20, v29
	v_fmac_f32_e32 v26, v27, v28
	s_delay_alu instid0(VALU_DEP_1)
	v_fmac_f32_e32 v26, v19, v20
	s_cbranch_scc1 .LBB101_16
	s_branch .LBB101_11
.LBB101_17:                             ;   in Loop: Header=BB101_9 Depth=1
	s_or_b32 exec_lo, exec_lo, s22
.LBB101_18:                             ;   in Loop: Header=BB101_9 Depth=1
	s_delay_alu instid0(SALU_CYCLE_1) | instskip(NEXT) | instid1(SALU_CYCLE_1)
	s_or_b32 exec_lo, exec_lo, s21
	s_mov_b32 s1, exec_lo
	v_cmpx_gt_i64_e64 s[14:15], v[12:13]
	s_cbranch_execz .LBB101_8
; %bb.19:                               ;   in Loop: Header=BB101_9 Depth=1
	s_and_b32 vcc_lo, exec_lo, s3
	s_cbranch_vccz .LBB101_25
; %bb.20:                               ;   in Loop: Header=BB101_9 Depth=1
	s_and_b32 vcc_lo, exec_lo, s20
	s_mov_b32 s21, -1
	s_cbranch_vccz .LBB101_22
; %bb.21:                               ;   in Loop: Header=BB101_9 Depth=1
	v_lshl_add_u64 v[14:15], v[12:13], 2, v[4:5]
	v_mul_f32_e32 v17, s2, v26
	s_mov_b32 s21, 0
	global_load_b32 v16, v[14:15], off
	s_wait_loadcnt 0x0
	v_fmac_f32_e32 v17, s24, v16
	global_store_b32 v[14:15], v17, off
.LBB101_22:                             ;   in Loop: Header=BB101_9 Depth=1
	s_and_not1_b32 vcc_lo, exec_lo, s21
	s_cbranch_vccnz .LBB101_24
; %bb.23:                               ;   in Loop: Header=BB101_9 Depth=1
	s_wait_xcnt 0x0
	v_mul_u64_e32 v[14:15], s[18:19], v[12:13]
	v_mul_f32_e32 v17, s2, v26
	s_delay_alu instid0(VALU_DEP_2)
	v_lshl_add_u64 v[14:15], v[14:15], 2, v[2:3]
	global_load_b32 v16, v[14:15], off
	s_wait_loadcnt 0x0
	v_fmac_f32_e32 v17, s24, v16
	global_store_b32 v[14:15], v17, off
.LBB101_24:                             ;   in Loop: Header=BB101_9 Depth=1
	s_cbranch_execnz .LBB101_8
	s_branch .LBB101_26
.LBB101_25:                             ;   in Loop: Header=BB101_9 Depth=1
.LBB101_26:                             ;   in Loop: Header=BB101_9 Depth=1
	s_wait_xcnt 0x0
	v_mul_f32_e32 v14, s2, v26
	s_and_b32 vcc_lo, exec_lo, s20
	s_mov_b32 s21, -1
	s_cbranch_vccz .LBB101_28
; %bb.27:                               ;   in Loop: Header=BB101_9 Depth=1
	v_lshl_add_u64 v[16:17], v[12:13], 2, v[4:5]
	s_mov_b32 s21, 0
	global_store_b32 v[16:17], v14, off
.LBB101_28:                             ;   in Loop: Header=BB101_9 Depth=1
	s_and_not1_b32 vcc_lo, exec_lo, s21
	s_cbranch_vccnz .LBB101_8
; %bb.29:                               ;   in Loop: Header=BB101_9 Depth=1
	v_mul_u64_e32 v[12:13], s[18:19], v[12:13]
	s_delay_alu instid0(VALU_DEP_1)
	v_lshl_add_u64 v[12:13], v[12:13], 2, v[2:3]
	global_store_b32 v[12:13], v14, off
	s_branch .LBB101_8
.LBB101_30:
	s_endpgm
	.section	.rodata,"a",@progbits
	.p2align	6, 0x0
	.amdhsa_kernel _ZN9rocsparseL29bsrmmnt_small_blockdim_kernelILj64ELj8ELj2EllaaffEEv20rocsparse_direction_T3_S2_llNS_24const_host_device_scalarIT7_EEPKT2_PKS2_PKT4_PKT5_llS5_PT6_ll16rocsparse_order_21rocsparse_index_base_b
		.amdhsa_group_segment_fixed_size 704
		.amdhsa_private_segment_fixed_size 0
		.amdhsa_kernarg_size 400
		.amdhsa_user_sgpr_count 2
		.amdhsa_user_sgpr_dispatch_ptr 0
		.amdhsa_user_sgpr_queue_ptr 0
		.amdhsa_user_sgpr_kernarg_segment_ptr 1
		.amdhsa_user_sgpr_dispatch_id 0
		.amdhsa_user_sgpr_kernarg_preload_length 0
		.amdhsa_user_sgpr_kernarg_preload_offset 0
		.amdhsa_user_sgpr_private_segment_size 0
		.amdhsa_wavefront_size32 1
		.amdhsa_uses_dynamic_stack 0
		.amdhsa_enable_private_segment 0
		.amdhsa_system_sgpr_workgroup_id_x 1
		.amdhsa_system_sgpr_workgroup_id_y 0
		.amdhsa_system_sgpr_workgroup_id_z 0
		.amdhsa_system_sgpr_workgroup_info 0
		.amdhsa_system_vgpr_workitem_id 0
		.amdhsa_next_free_vgpr 34
		.amdhsa_next_free_sgpr 26
		.amdhsa_named_barrier_count 0
		.amdhsa_reserve_vcc 1
		.amdhsa_float_round_mode_32 0
		.amdhsa_float_round_mode_16_64 0
		.amdhsa_float_denorm_mode_32 3
		.amdhsa_float_denorm_mode_16_64 3
		.amdhsa_fp16_overflow 0
		.amdhsa_memory_ordered 1
		.amdhsa_forward_progress 1
		.amdhsa_inst_pref_size 11
		.amdhsa_round_robin_scheduling 0
		.amdhsa_exception_fp_ieee_invalid_op 0
		.amdhsa_exception_fp_denorm_src 0
		.amdhsa_exception_fp_ieee_div_zero 0
		.amdhsa_exception_fp_ieee_overflow 0
		.amdhsa_exception_fp_ieee_underflow 0
		.amdhsa_exception_fp_ieee_inexact 0
		.amdhsa_exception_int_div_zero 0
	.end_amdhsa_kernel
	.section	.text._ZN9rocsparseL29bsrmmnt_small_blockdim_kernelILj64ELj8ELj2EllaaffEEv20rocsparse_direction_T3_S2_llNS_24const_host_device_scalarIT7_EEPKT2_PKS2_PKT4_PKT5_llS5_PT6_ll16rocsparse_order_21rocsparse_index_base_b,"axG",@progbits,_ZN9rocsparseL29bsrmmnt_small_blockdim_kernelILj64ELj8ELj2EllaaffEEv20rocsparse_direction_T3_S2_llNS_24const_host_device_scalarIT7_EEPKT2_PKS2_PKT4_PKT5_llS5_PT6_ll16rocsparse_order_21rocsparse_index_base_b,comdat
.Lfunc_end101:
	.size	_ZN9rocsparseL29bsrmmnt_small_blockdim_kernelILj64ELj8ELj2EllaaffEEv20rocsparse_direction_T3_S2_llNS_24const_host_device_scalarIT7_EEPKT2_PKS2_PKT4_PKT5_llS5_PT6_ll16rocsparse_order_21rocsparse_index_base_b, .Lfunc_end101-_ZN9rocsparseL29bsrmmnt_small_blockdim_kernelILj64ELj8ELj2EllaaffEEv20rocsparse_direction_T3_S2_llNS_24const_host_device_scalarIT7_EEPKT2_PKS2_PKT4_PKT5_llS5_PT6_ll16rocsparse_order_21rocsparse_index_base_b
                                        ; -- End function
	.set _ZN9rocsparseL29bsrmmnt_small_blockdim_kernelILj64ELj8ELj2EllaaffEEv20rocsparse_direction_T3_S2_llNS_24const_host_device_scalarIT7_EEPKT2_PKS2_PKT4_PKT5_llS5_PT6_ll16rocsparse_order_21rocsparse_index_base_b.num_vgpr, 34
	.set _ZN9rocsparseL29bsrmmnt_small_blockdim_kernelILj64ELj8ELj2EllaaffEEv20rocsparse_direction_T3_S2_llNS_24const_host_device_scalarIT7_EEPKT2_PKS2_PKT4_PKT5_llS5_PT6_ll16rocsparse_order_21rocsparse_index_base_b.num_agpr, 0
	.set _ZN9rocsparseL29bsrmmnt_small_blockdim_kernelILj64ELj8ELj2EllaaffEEv20rocsparse_direction_T3_S2_llNS_24const_host_device_scalarIT7_EEPKT2_PKS2_PKT4_PKT5_llS5_PT6_ll16rocsparse_order_21rocsparse_index_base_b.numbered_sgpr, 26
	.set _ZN9rocsparseL29bsrmmnt_small_blockdim_kernelILj64ELj8ELj2EllaaffEEv20rocsparse_direction_T3_S2_llNS_24const_host_device_scalarIT7_EEPKT2_PKS2_PKT4_PKT5_llS5_PT6_ll16rocsparse_order_21rocsparse_index_base_b.num_named_barrier, 0
	.set _ZN9rocsparseL29bsrmmnt_small_blockdim_kernelILj64ELj8ELj2EllaaffEEv20rocsparse_direction_T3_S2_llNS_24const_host_device_scalarIT7_EEPKT2_PKS2_PKT4_PKT5_llS5_PT6_ll16rocsparse_order_21rocsparse_index_base_b.private_seg_size, 0
	.set _ZN9rocsparseL29bsrmmnt_small_blockdim_kernelILj64ELj8ELj2EllaaffEEv20rocsparse_direction_T3_S2_llNS_24const_host_device_scalarIT7_EEPKT2_PKS2_PKT4_PKT5_llS5_PT6_ll16rocsparse_order_21rocsparse_index_base_b.uses_vcc, 1
	.set _ZN9rocsparseL29bsrmmnt_small_blockdim_kernelILj64ELj8ELj2EllaaffEEv20rocsparse_direction_T3_S2_llNS_24const_host_device_scalarIT7_EEPKT2_PKS2_PKT4_PKT5_llS5_PT6_ll16rocsparse_order_21rocsparse_index_base_b.uses_flat_scratch, 0
	.set _ZN9rocsparseL29bsrmmnt_small_blockdim_kernelILj64ELj8ELj2EllaaffEEv20rocsparse_direction_T3_S2_llNS_24const_host_device_scalarIT7_EEPKT2_PKS2_PKT4_PKT5_llS5_PT6_ll16rocsparse_order_21rocsparse_index_base_b.has_dyn_sized_stack, 0
	.set _ZN9rocsparseL29bsrmmnt_small_blockdim_kernelILj64ELj8ELj2EllaaffEEv20rocsparse_direction_T3_S2_llNS_24const_host_device_scalarIT7_EEPKT2_PKS2_PKT4_PKT5_llS5_PT6_ll16rocsparse_order_21rocsparse_index_base_b.has_recursion, 0
	.set _ZN9rocsparseL29bsrmmnt_small_blockdim_kernelILj64ELj8ELj2EllaaffEEv20rocsparse_direction_T3_S2_llNS_24const_host_device_scalarIT7_EEPKT2_PKS2_PKT4_PKT5_llS5_PT6_ll16rocsparse_order_21rocsparse_index_base_b.has_indirect_call, 0
	.section	.AMDGPU.csdata,"",@progbits
; Kernel info:
; codeLenInByte = 1380
; TotalNumSgprs: 28
; NumVgprs: 34
; ScratchSize: 0
; MemoryBound: 0
; FloatMode: 240
; IeeeMode: 1
; LDSByteSize: 704 bytes/workgroup (compile time only)
; SGPRBlocks: 0
; VGPRBlocks: 2
; NumSGPRsForWavesPerEU: 28
; NumVGPRsForWavesPerEU: 34
; NamedBarCnt: 0
; Occupancy: 16
; WaveLimiterHint : 1
; COMPUTE_PGM_RSRC2:SCRATCH_EN: 0
; COMPUTE_PGM_RSRC2:USER_SGPR: 2
; COMPUTE_PGM_RSRC2:TRAP_HANDLER: 0
; COMPUTE_PGM_RSRC2:TGID_X_EN: 1
; COMPUTE_PGM_RSRC2:TGID_Y_EN: 0
; COMPUTE_PGM_RSRC2:TGID_Z_EN: 0
; COMPUTE_PGM_RSRC2:TIDIG_COMP_CNT: 0
	.section	.text._ZN9rocsparseL29bsrmmnt_small_blockdim_kernelILj64ELj16ELj2EllaaffEEv20rocsparse_direction_T3_S2_llNS_24const_host_device_scalarIT7_EEPKT2_PKS2_PKT4_PKT5_llS5_PT6_ll16rocsparse_order_21rocsparse_index_base_b,"axG",@progbits,_ZN9rocsparseL29bsrmmnt_small_blockdim_kernelILj64ELj16ELj2EllaaffEEv20rocsparse_direction_T3_S2_llNS_24const_host_device_scalarIT7_EEPKT2_PKS2_PKT4_PKT5_llS5_PT6_ll16rocsparse_order_21rocsparse_index_base_b,comdat
	.globl	_ZN9rocsparseL29bsrmmnt_small_blockdim_kernelILj64ELj16ELj2EllaaffEEv20rocsparse_direction_T3_S2_llNS_24const_host_device_scalarIT7_EEPKT2_PKS2_PKT4_PKT5_llS5_PT6_ll16rocsparse_order_21rocsparse_index_base_b ; -- Begin function _ZN9rocsparseL29bsrmmnt_small_blockdim_kernelILj64ELj16ELj2EllaaffEEv20rocsparse_direction_T3_S2_llNS_24const_host_device_scalarIT7_EEPKT2_PKS2_PKT4_PKT5_llS5_PT6_ll16rocsparse_order_21rocsparse_index_base_b
	.p2align	8
	.type	_ZN9rocsparseL29bsrmmnt_small_blockdim_kernelILj64ELj16ELj2EllaaffEEv20rocsparse_direction_T3_S2_llNS_24const_host_device_scalarIT7_EEPKT2_PKS2_PKT4_PKT5_llS5_PT6_ll16rocsparse_order_21rocsparse_index_base_b,@function
_ZN9rocsparseL29bsrmmnt_small_blockdim_kernelILj64ELj16ELj2EllaaffEEv20rocsparse_direction_T3_S2_llNS_24const_host_device_scalarIT7_EEPKT2_PKS2_PKT4_PKT5_llS5_PT6_ll16rocsparse_order_21rocsparse_index_base_b: ; @_ZN9rocsparseL29bsrmmnt_small_blockdim_kernelILj64ELj16ELj2EllaaffEEv20rocsparse_direction_T3_S2_llNS_24const_host_device_scalarIT7_EEPKT2_PKS2_PKT4_PKT5_llS5_PT6_ll16rocsparse_order_21rocsparse_index_base_b
; %bb.0:
	s_clause 0x2
	s_load_b96 s[20:22], s[0:1], 0x80
	s_load_b64 s[2:3], s[0:1], 0x28
	s_load_b64 s[24:25], s[0:1], 0x60
	s_wait_kmcnt 0x0
	s_bitcmp1_b32 s22, 0
	s_cselect_b32 s4, -1, 0
	s_delay_alu instid0(SALU_CYCLE_1)
	s_and_b32 vcc_lo, exec_lo, s4
	s_xor_b32 s4, s4, -1
	s_cbranch_vccnz .LBB102_2
; %bb.1:
	s_load_b32 s2, s[2:3], 0x0
.LBB102_2:
	s_and_not1_b32 vcc_lo, exec_lo, s4
	s_cbranch_vccnz .LBB102_4
; %bb.3:
	s_load_b32 s24, s[24:25], 0x0
.LBB102_4:
	s_wait_kmcnt 0x0
	s_cmp_eq_f32 s2, 0
	s_cselect_b32 s3, -1, 0
	s_cmp_eq_f32 s24, 1.0
	s_cselect_b32 s4, -1, 0
	s_delay_alu instid0(SALU_CYCLE_1) | instskip(NEXT) | instid1(SALU_CYCLE_1)
	s_and_b32 s3, s3, s4
	s_and_b32 vcc_lo, exec_lo, s3
	s_cbranch_vccnz .LBB102_30
; %bb.5:
	s_clause 0x1
	s_load_b32 s3, s[0:1], 0x9c
	s_load_b128 s[12:15], s[0:1], 0x8
	s_bfe_u32 s4, ttmp6, 0x4000c
	s_and_b32 s5, ttmp6, 15
	s_add_co_i32 s4, s4, 1
	s_getreg_b32 s6, hwreg(HW_REG_IB_STS2, 6, 4)
	s_mul_i32 s4, ttmp9, s4
	s_delay_alu instid0(SALU_CYCLE_1) | instskip(SKIP_4) | instid1(SALU_CYCLE_1)
	s_add_co_i32 s5, s5, s4
	s_wait_kmcnt 0x0
	s_and_b32 s3, s3, 0xffff
	s_cmp_eq_u32 s6, 0
	s_cselect_b32 s4, ttmp9, s5
	v_mad_u32 v1, s4, s3, v0
	v_mov_b32_e32 v3, 0
	s_mov_b32 s3, exec_lo
	s_delay_alu instid0(VALU_DEP_2) | instskip(NEXT) | instid1(VALU_DEP_1)
	v_lshrrev_b32_e32 v2, 5, v1
	v_cmpx_gt_i64_e64 s[12:13], v[2:3]
	s_cbranch_execz .LBB102_30
; %bb.6:
	v_cmp_lt_i64_e64 s3, s[14:15], 1
	s_and_b32 vcc_lo, exec_lo, s3
	s_cbranch_vccnz .LBB102_30
; %bb.7:
	s_load_b256 s[4:11], s[0:1], 0x30
	v_dual_mov_b32 v3, 0 :: v_dual_lshlrev_b32 v2, 3, v2
	s_load_b128 s[16:19], s[0:1], 0x68
	v_bfe_u32 v6, v1, 4, 1
	s_mov_b32 s13, 0
	s_mov_b32 s12, s21
	v_dual_lshrrev_b32 v8, 4, v0 :: v_dual_bitop2_b32 v0, 15, v0 bitop3:0x40
	s_delay_alu instid0(VALU_DEP_1) | instskip(SKIP_1) | instid1(VALU_DEP_3)
	v_dual_mov_b32 v7, v3 :: v_dual_lshlrev_b32 v22, 7, v8
	v_mul_u32_u24_e32 v8, 48, v8
	v_mul_u32_u24_e32 v16, 3, v0
	s_delay_alu instid0(VALU_DEP_2)
	v_or_b32_e32 v24, 0x200, v8
	s_wait_kmcnt 0x0
	global_load_b128 v[10:13], v2, s[4:5]
	s_wait_xcnt 0x0
	v_lshrrev_b32_e32 v2, 4, v1
	s_clause 0x1
	s_load_b32 s3, s[0:1], 0x0
	s_load_b64 s[4:5], s[0:1], 0x50
	v_mov_b32_e32 v1, v3
	v_lshl_or_b32 v23, v0, 3, v22
	v_add_nc_u32_e32 v25, v24, v16
	v_mul_u64_e32 v[4:5], s[18:19], v[2:3]
	v_lshlrev_b32_e32 v2, 2, v2
	s_delay_alu instid0(VALU_DEP_1)
	v_add_nc_u64_e32 v[2:3], s[16:17], v[2:3]
	s_wait_kmcnt 0x0
	s_cmp_eq_u32 s3, 0
	s_cselect_b32 s1, -1, 0
	s_cmp_neq_f32 s24, 0
	v_cndmask_b32_e64 v9, 0, 1, s1
	s_cselect_b32 s3, -1, 0
	s_cmp_lg_u32 s20, 1
	s_delay_alu instid0(VALU_DEP_1)
	v_lshlrev_b64_e32 v[14:15], v9, v[6:7]
	s_cselect_b32 s20, -1, 0
	s_and_b32 s1, s1, exec_lo
	v_lshl_add_u64 v[4:5], v[4:5], 2, s[16:17]
	s_mov_b64 s[16:17], 0
	s_wait_loadcnt 0x0
	v_sub_nc_u64_e64 v[6:7], v[10:11], s[12:13]
	v_sub_nc_u64_e64 v[8:9], v[12:13], s[12:13]
	v_cmp_lt_i64_e64 s0, v[10:11], v[12:13]
	v_add_nc_u64_e32 v[10:11], s[8:9], v[14:15]
	s_cselect_b32 s8, 1, 2
	s_mov_b32 s9, s13
	s_branch .LBB102_9
.LBB102_8:                              ;   in Loop: Header=BB102_9 Depth=1
	s_wait_xcnt 0x0
	s_or_b32 exec_lo, exec_lo, s1
	s_add_nc_u64 s[16:17], s[16:17], 16
	s_delay_alu instid0(SALU_CYCLE_1)
	v_cmp_lt_i64_e64 s1, s[16:17], s[14:15]
	s_and_b32 vcc_lo, exec_lo, s1
	s_cbranch_vccz .LBB102_30
.LBB102_9:                              ; =>This Loop Header: Depth=1
                                        ;     Child Loop BB102_12 Depth 2
                                        ;       Child Loop BB102_16 Depth 3
	v_dual_mov_b32 v13, s17 :: v_dual_bitop2_b32 v12, s16, v0 bitop3:0x54
	v_mov_b32_e32 v26, 0
	s_and_saveexec_b32 s21, s0
	s_cbranch_execz .LBB102_18
; %bb.10:                               ;   in Loop: Header=BB102_9 Depth=1
	s_delay_alu instid0(VALU_DEP_2)
	v_add_nc_u64_e32 v[14:15], s[10:11], v[12:13]
	v_mov_b64_e32 v[16:17], v[6:7]
	v_mov_b32_e32 v26, 0
	s_mov_b32 s22, 0
	v_cmp_gt_i64_e32 vcc_lo, s[14:15], v[12:13]
	s_branch .LBB102_12
.LBB102_11:                             ;   in Loop: Header=BB102_12 Depth=2
	s_or_b32 exec_lo, exec_lo, s1
	v_add_nc_u64_e32 v[16:17], 16, v[16:17]
	s_delay_alu instid0(VALU_DEP_1) | instskip(SKIP_1) | instid1(SALU_CYCLE_1)
	v_cmp_ge_i64_e64 s1, v[16:17], v[8:9]
	s_or_b32 s22, s1, s22
	s_and_not1_b32 exec_lo, exec_lo, s22
	s_cbranch_execz .LBB102_17
.LBB102_12:                             ;   Parent Loop BB102_9 Depth=1
                                        ; =>  This Loop Header: Depth=2
                                        ;       Child Loop BB102_16 Depth 3
	s_delay_alu instid0(VALU_DEP_3) | instskip(SKIP_3) | instid1(VALU_DEP_3)
	v_add_nc_u64_e32 v[20:21], v[16:17], v[0:1]
	v_mov_b64_e32 v[18:19], 0
	v_dual_mov_b32 v27, 0 :: v_dual_mov_b32 v28, 0
	s_mov_b32 s23, exec_lo
	v_cmpx_lt_i64_e64 v[20:21], v[8:9]
	s_cbranch_execz .LBB102_14
; %bb.13:                               ;   in Loop: Header=BB102_12 Depth=2
	v_lshl_add_u64 v[18:19], v[20:21], 3, s[6:7]
	v_lshl_add_u64 v[20:21], v[20:21], 2, v[10:11]
	global_load_b64 v[18:19], v[18:19], off
	v_add_nc_u64_e32 v[30:31], s[8:9], v[20:21]
	s_clause 0x1
	global_load_u8 v27, v[20:21], off
	global_load_u8 v28, v[30:31], off
	s_wait_loadcnt 0x2
	s_wait_xcnt 0x2
	v_sub_nc_u64_e64 v[18:19], v[18:19], s[12:13]
	s_delay_alu instid0(VALU_DEP_1)
	v_lshlrev_b64_e32 v[18:19], 1, v[18:19]
.LBB102_14:                             ;   in Loop: Header=BB102_12 Depth=2
	s_wait_xcnt 0x0
	s_or_b32 exec_lo, exec_lo, s23
	ds_store_b64 v23, v[18:19]
	s_wait_loadcnt 0x1
	ds_store_b8 v25, v27
	s_wait_loadcnt 0x0
	ds_store_b8 v25, v28 offset:1
	s_wait_dscnt 0x0
	s_barrier_signal -1
	s_barrier_wait -1
	s_and_saveexec_b32 s1, vcc_lo
	s_cbranch_execz .LBB102_11
; %bb.15:                               ;   in Loop: Header=BB102_12 Depth=2
	v_mov_b32_e32 v18, v22
	s_mov_b32 s23, 0
.LBB102_16:                             ;   Parent Loop BB102_9 Depth=1
                                        ;     Parent Loop BB102_12 Depth=2
                                        ; =>    This Inner Loop Header: Depth=3
	ds_load_b128 v[28:31], v18
	v_add_nc_u32_e32 v18, 16, v18
	s_wait_dscnt 0x0
	v_mad_nc_u64_u32 v[20:21], v28, s4, v[14:15]
	v_mad_nc_u64_u32 v[32:33], v30, s4, v[14:15]
	s_delay_alu instid0(VALU_DEP_2) | instskip(NEXT) | instid1(VALU_DEP_2)
	v_mad_u32 v19, v29, s4, v21
	v_mad_u32 v27, v31, s4, v33
	s_delay_alu instid0(VALU_DEP_2) | instskip(NEXT) | instid1(VALU_DEP_2)
	v_mad_u32 v21, v28, s5, v19
	v_mad_u32 v33, v30, s5, v27
	s_delay_alu instid0(VALU_DEP_2)
	v_add_nc_u64_e32 v[28:29], s[4:5], v[20:21]
	s_clause 0x1
	global_load_i8 v19, v[20:21], off
	global_load_i8 v27, v[28:29], off
	s_wait_xcnt 0x1
	v_add_nc_u64_e32 v[20:21], s[4:5], v[32:33]
	s_clause 0x1
	global_load_i8 v28, v[32:33], off
	global_load_i8 v29, v[20:21], off
	s_wait_loadcnt 0x3
	v_cvt_f32_i32_e32 v19, v19
	s_wait_xcnt 0x0
	v_add_nc_u32_e32 v20, s23, v24
	ds_load_u16 v21, v20
	ds_load_i8 v30, v20 offset:3
	ds_load_i8 v20, v20 offset:4
	s_wait_loadcnt 0x1
	v_cvt_f32_i32_e32 v28, v28
	s_add_co_i32 s23, s23, 6
	s_delay_alu instid0(SALU_CYCLE_1) | instskip(SKIP_3) | instid1(VALU_DEP_2)
	s_cmp_lg_u32 s23, 48
	s_wait_dscnt 0x2
	v_bfe_i32 v31, v21, 0, 8
	v_ashrrev_i16 v21, 8, v21
	v_bfe_i32 v31, v31, 0, 16
	s_delay_alu instid0(VALU_DEP_2) | instskip(NEXT) | instid1(VALU_DEP_2)
	v_bfe_i32 v21, v21, 0, 16
	v_cvt_f32_i32_e32 v31, v31
	s_delay_alu instid0(VALU_DEP_2) | instskip(NEXT) | instid1(VALU_DEP_2)
	v_cvt_f32_i32_e32 v21, v21
	v_fmac_f32_e32 v26, v31, v19
	v_cvt_f32_i32_e32 v19, v27
	s_wait_dscnt 0x1
	v_cvt_f32_i32_e32 v27, v30
	s_delay_alu instid0(VALU_DEP_2)
	v_fmac_f32_e32 v26, v21, v19
	s_wait_dscnt 0x0
	v_cvt_f32_i32_e32 v19, v20
	s_wait_loadcnt 0x0
	v_cvt_f32_i32_e32 v20, v29
	v_fmac_f32_e32 v26, v27, v28
	s_delay_alu instid0(VALU_DEP_1)
	v_fmac_f32_e32 v26, v19, v20
	s_cbranch_scc1 .LBB102_16
	s_branch .LBB102_11
.LBB102_17:                             ;   in Loop: Header=BB102_9 Depth=1
	s_or_b32 exec_lo, exec_lo, s22
.LBB102_18:                             ;   in Loop: Header=BB102_9 Depth=1
	s_delay_alu instid0(SALU_CYCLE_1) | instskip(NEXT) | instid1(SALU_CYCLE_1)
	s_or_b32 exec_lo, exec_lo, s21
	s_mov_b32 s1, exec_lo
	v_cmpx_gt_i64_e64 s[14:15], v[12:13]
	s_cbranch_execz .LBB102_8
; %bb.19:                               ;   in Loop: Header=BB102_9 Depth=1
	s_and_b32 vcc_lo, exec_lo, s3
	s_cbranch_vccz .LBB102_25
; %bb.20:                               ;   in Loop: Header=BB102_9 Depth=1
	s_and_b32 vcc_lo, exec_lo, s20
	s_mov_b32 s21, -1
	s_cbranch_vccz .LBB102_22
; %bb.21:                               ;   in Loop: Header=BB102_9 Depth=1
	v_lshl_add_u64 v[14:15], v[12:13], 2, v[4:5]
	v_mul_f32_e32 v17, s2, v26
	s_mov_b32 s21, 0
	global_load_b32 v16, v[14:15], off
	s_wait_loadcnt 0x0
	v_fmac_f32_e32 v17, s24, v16
	global_store_b32 v[14:15], v17, off
.LBB102_22:                             ;   in Loop: Header=BB102_9 Depth=1
	s_and_not1_b32 vcc_lo, exec_lo, s21
	s_cbranch_vccnz .LBB102_24
; %bb.23:                               ;   in Loop: Header=BB102_9 Depth=1
	s_wait_xcnt 0x0
	v_mul_u64_e32 v[14:15], s[18:19], v[12:13]
	v_mul_f32_e32 v17, s2, v26
	s_delay_alu instid0(VALU_DEP_2)
	v_lshl_add_u64 v[14:15], v[14:15], 2, v[2:3]
	global_load_b32 v16, v[14:15], off
	s_wait_loadcnt 0x0
	v_fmac_f32_e32 v17, s24, v16
	global_store_b32 v[14:15], v17, off
.LBB102_24:                             ;   in Loop: Header=BB102_9 Depth=1
	s_cbranch_execnz .LBB102_8
	s_branch .LBB102_26
.LBB102_25:                             ;   in Loop: Header=BB102_9 Depth=1
.LBB102_26:                             ;   in Loop: Header=BB102_9 Depth=1
	s_wait_xcnt 0x0
	v_mul_f32_e32 v14, s2, v26
	s_and_b32 vcc_lo, exec_lo, s20
	s_mov_b32 s21, -1
	s_cbranch_vccz .LBB102_28
; %bb.27:                               ;   in Loop: Header=BB102_9 Depth=1
	v_lshl_add_u64 v[16:17], v[12:13], 2, v[4:5]
	s_mov_b32 s21, 0
	global_store_b32 v[16:17], v14, off
.LBB102_28:                             ;   in Loop: Header=BB102_9 Depth=1
	s_and_not1_b32 vcc_lo, exec_lo, s21
	s_cbranch_vccnz .LBB102_8
; %bb.29:                               ;   in Loop: Header=BB102_9 Depth=1
	v_mul_u64_e32 v[12:13], s[18:19], v[12:13]
	s_delay_alu instid0(VALU_DEP_1)
	v_lshl_add_u64 v[12:13], v[12:13], 2, v[2:3]
	global_store_b32 v[12:13], v14, off
	s_branch .LBB102_8
.LBB102_30:
	s_endpgm
	.section	.rodata,"a",@progbits
	.p2align	6, 0x0
	.amdhsa_kernel _ZN9rocsparseL29bsrmmnt_small_blockdim_kernelILj64ELj16ELj2EllaaffEEv20rocsparse_direction_T3_S2_llNS_24const_host_device_scalarIT7_EEPKT2_PKS2_PKT4_PKT5_llS5_PT6_ll16rocsparse_order_21rocsparse_index_base_b
		.amdhsa_group_segment_fixed_size 704
		.amdhsa_private_segment_fixed_size 0
		.amdhsa_kernarg_size 400
		.amdhsa_user_sgpr_count 2
		.amdhsa_user_sgpr_dispatch_ptr 0
		.amdhsa_user_sgpr_queue_ptr 0
		.amdhsa_user_sgpr_kernarg_segment_ptr 1
		.amdhsa_user_sgpr_dispatch_id 0
		.amdhsa_user_sgpr_kernarg_preload_length 0
		.amdhsa_user_sgpr_kernarg_preload_offset 0
		.amdhsa_user_sgpr_private_segment_size 0
		.amdhsa_wavefront_size32 1
		.amdhsa_uses_dynamic_stack 0
		.amdhsa_enable_private_segment 0
		.amdhsa_system_sgpr_workgroup_id_x 1
		.amdhsa_system_sgpr_workgroup_id_y 0
		.amdhsa_system_sgpr_workgroup_id_z 0
		.amdhsa_system_sgpr_workgroup_info 0
		.amdhsa_system_vgpr_workitem_id 0
		.amdhsa_next_free_vgpr 34
		.amdhsa_next_free_sgpr 26
		.amdhsa_named_barrier_count 0
		.amdhsa_reserve_vcc 1
		.amdhsa_float_round_mode_32 0
		.amdhsa_float_round_mode_16_64 0
		.amdhsa_float_denorm_mode_32 3
		.amdhsa_float_denorm_mode_16_64 3
		.amdhsa_fp16_overflow 0
		.amdhsa_memory_ordered 1
		.amdhsa_forward_progress 1
		.amdhsa_inst_pref_size 11
		.amdhsa_round_robin_scheduling 0
		.amdhsa_exception_fp_ieee_invalid_op 0
		.amdhsa_exception_fp_denorm_src 0
		.amdhsa_exception_fp_ieee_div_zero 0
		.amdhsa_exception_fp_ieee_overflow 0
		.amdhsa_exception_fp_ieee_underflow 0
		.amdhsa_exception_fp_ieee_inexact 0
		.amdhsa_exception_int_div_zero 0
	.end_amdhsa_kernel
	.section	.text._ZN9rocsparseL29bsrmmnt_small_blockdim_kernelILj64ELj16ELj2EllaaffEEv20rocsparse_direction_T3_S2_llNS_24const_host_device_scalarIT7_EEPKT2_PKS2_PKT4_PKT5_llS5_PT6_ll16rocsparse_order_21rocsparse_index_base_b,"axG",@progbits,_ZN9rocsparseL29bsrmmnt_small_blockdim_kernelILj64ELj16ELj2EllaaffEEv20rocsparse_direction_T3_S2_llNS_24const_host_device_scalarIT7_EEPKT2_PKS2_PKT4_PKT5_llS5_PT6_ll16rocsparse_order_21rocsparse_index_base_b,comdat
.Lfunc_end102:
	.size	_ZN9rocsparseL29bsrmmnt_small_blockdim_kernelILj64ELj16ELj2EllaaffEEv20rocsparse_direction_T3_S2_llNS_24const_host_device_scalarIT7_EEPKT2_PKS2_PKT4_PKT5_llS5_PT6_ll16rocsparse_order_21rocsparse_index_base_b, .Lfunc_end102-_ZN9rocsparseL29bsrmmnt_small_blockdim_kernelILj64ELj16ELj2EllaaffEEv20rocsparse_direction_T3_S2_llNS_24const_host_device_scalarIT7_EEPKT2_PKS2_PKT4_PKT5_llS5_PT6_ll16rocsparse_order_21rocsparse_index_base_b
                                        ; -- End function
	.set _ZN9rocsparseL29bsrmmnt_small_blockdim_kernelILj64ELj16ELj2EllaaffEEv20rocsparse_direction_T3_S2_llNS_24const_host_device_scalarIT7_EEPKT2_PKS2_PKT4_PKT5_llS5_PT6_ll16rocsparse_order_21rocsparse_index_base_b.num_vgpr, 34
	.set _ZN9rocsparseL29bsrmmnt_small_blockdim_kernelILj64ELj16ELj2EllaaffEEv20rocsparse_direction_T3_S2_llNS_24const_host_device_scalarIT7_EEPKT2_PKS2_PKT4_PKT5_llS5_PT6_ll16rocsparse_order_21rocsparse_index_base_b.num_agpr, 0
	.set _ZN9rocsparseL29bsrmmnt_small_blockdim_kernelILj64ELj16ELj2EllaaffEEv20rocsparse_direction_T3_S2_llNS_24const_host_device_scalarIT7_EEPKT2_PKS2_PKT4_PKT5_llS5_PT6_ll16rocsparse_order_21rocsparse_index_base_b.numbered_sgpr, 26
	.set _ZN9rocsparseL29bsrmmnt_small_blockdim_kernelILj64ELj16ELj2EllaaffEEv20rocsparse_direction_T3_S2_llNS_24const_host_device_scalarIT7_EEPKT2_PKS2_PKT4_PKT5_llS5_PT6_ll16rocsparse_order_21rocsparse_index_base_b.num_named_barrier, 0
	.set _ZN9rocsparseL29bsrmmnt_small_blockdim_kernelILj64ELj16ELj2EllaaffEEv20rocsparse_direction_T3_S2_llNS_24const_host_device_scalarIT7_EEPKT2_PKS2_PKT4_PKT5_llS5_PT6_ll16rocsparse_order_21rocsparse_index_base_b.private_seg_size, 0
	.set _ZN9rocsparseL29bsrmmnt_small_blockdim_kernelILj64ELj16ELj2EllaaffEEv20rocsparse_direction_T3_S2_llNS_24const_host_device_scalarIT7_EEPKT2_PKS2_PKT4_PKT5_llS5_PT6_ll16rocsparse_order_21rocsparse_index_base_b.uses_vcc, 1
	.set _ZN9rocsparseL29bsrmmnt_small_blockdim_kernelILj64ELj16ELj2EllaaffEEv20rocsparse_direction_T3_S2_llNS_24const_host_device_scalarIT7_EEPKT2_PKS2_PKT4_PKT5_llS5_PT6_ll16rocsparse_order_21rocsparse_index_base_b.uses_flat_scratch, 0
	.set _ZN9rocsparseL29bsrmmnt_small_blockdim_kernelILj64ELj16ELj2EllaaffEEv20rocsparse_direction_T3_S2_llNS_24const_host_device_scalarIT7_EEPKT2_PKS2_PKT4_PKT5_llS5_PT6_ll16rocsparse_order_21rocsparse_index_base_b.has_dyn_sized_stack, 0
	.set _ZN9rocsparseL29bsrmmnt_small_blockdim_kernelILj64ELj16ELj2EllaaffEEv20rocsparse_direction_T3_S2_llNS_24const_host_device_scalarIT7_EEPKT2_PKS2_PKT4_PKT5_llS5_PT6_ll16rocsparse_order_21rocsparse_index_base_b.has_recursion, 0
	.set _ZN9rocsparseL29bsrmmnt_small_blockdim_kernelILj64ELj16ELj2EllaaffEEv20rocsparse_direction_T3_S2_llNS_24const_host_device_scalarIT7_EEPKT2_PKS2_PKT4_PKT5_llS5_PT6_ll16rocsparse_order_21rocsparse_index_base_b.has_indirect_call, 0
	.section	.AMDGPU.csdata,"",@progbits
; Kernel info:
; codeLenInByte = 1380
; TotalNumSgprs: 28
; NumVgprs: 34
; ScratchSize: 0
; MemoryBound: 0
; FloatMode: 240
; IeeeMode: 1
; LDSByteSize: 704 bytes/workgroup (compile time only)
; SGPRBlocks: 0
; VGPRBlocks: 2
; NumSGPRsForWavesPerEU: 28
; NumVGPRsForWavesPerEU: 34
; NamedBarCnt: 0
; Occupancy: 16
; WaveLimiterHint : 1
; COMPUTE_PGM_RSRC2:SCRATCH_EN: 0
; COMPUTE_PGM_RSRC2:USER_SGPR: 2
; COMPUTE_PGM_RSRC2:TRAP_HANDLER: 0
; COMPUTE_PGM_RSRC2:TGID_X_EN: 1
; COMPUTE_PGM_RSRC2:TGID_Y_EN: 0
; COMPUTE_PGM_RSRC2:TGID_Z_EN: 0
; COMPUTE_PGM_RSRC2:TIDIG_COMP_CNT: 0
	.section	.text._ZN9rocsparseL29bsrmmnt_small_blockdim_kernelILj64ELj32ELj2EllaaffEEv20rocsparse_direction_T3_S2_llNS_24const_host_device_scalarIT7_EEPKT2_PKS2_PKT4_PKT5_llS5_PT6_ll16rocsparse_order_21rocsparse_index_base_b,"axG",@progbits,_ZN9rocsparseL29bsrmmnt_small_blockdim_kernelILj64ELj32ELj2EllaaffEEv20rocsparse_direction_T3_S2_llNS_24const_host_device_scalarIT7_EEPKT2_PKS2_PKT4_PKT5_llS5_PT6_ll16rocsparse_order_21rocsparse_index_base_b,comdat
	.globl	_ZN9rocsparseL29bsrmmnt_small_blockdim_kernelILj64ELj32ELj2EllaaffEEv20rocsparse_direction_T3_S2_llNS_24const_host_device_scalarIT7_EEPKT2_PKS2_PKT4_PKT5_llS5_PT6_ll16rocsparse_order_21rocsparse_index_base_b ; -- Begin function _ZN9rocsparseL29bsrmmnt_small_blockdim_kernelILj64ELj32ELj2EllaaffEEv20rocsparse_direction_T3_S2_llNS_24const_host_device_scalarIT7_EEPKT2_PKS2_PKT4_PKT5_llS5_PT6_ll16rocsparse_order_21rocsparse_index_base_b
	.p2align	8
	.type	_ZN9rocsparseL29bsrmmnt_small_blockdim_kernelILj64ELj32ELj2EllaaffEEv20rocsparse_direction_T3_S2_llNS_24const_host_device_scalarIT7_EEPKT2_PKS2_PKT4_PKT5_llS5_PT6_ll16rocsparse_order_21rocsparse_index_base_b,@function
_ZN9rocsparseL29bsrmmnt_small_blockdim_kernelILj64ELj32ELj2EllaaffEEv20rocsparse_direction_T3_S2_llNS_24const_host_device_scalarIT7_EEPKT2_PKS2_PKT4_PKT5_llS5_PT6_ll16rocsparse_order_21rocsparse_index_base_b: ; @_ZN9rocsparseL29bsrmmnt_small_blockdim_kernelILj64ELj32ELj2EllaaffEEv20rocsparse_direction_T3_S2_llNS_24const_host_device_scalarIT7_EEPKT2_PKS2_PKT4_PKT5_llS5_PT6_ll16rocsparse_order_21rocsparse_index_base_b
; %bb.0:
	s_clause 0x2
	s_load_b96 s[20:22], s[0:1], 0x80
	s_load_b64 s[2:3], s[0:1], 0x28
	s_load_b64 s[24:25], s[0:1], 0x60
	s_wait_kmcnt 0x0
	s_bitcmp1_b32 s22, 0
	s_cselect_b32 s4, -1, 0
	s_delay_alu instid0(SALU_CYCLE_1)
	s_and_b32 vcc_lo, exec_lo, s4
	s_xor_b32 s4, s4, -1
	s_cbranch_vccnz .LBB103_2
; %bb.1:
	s_load_b32 s2, s[2:3], 0x0
.LBB103_2:
	s_and_not1_b32 vcc_lo, exec_lo, s4
	s_cbranch_vccnz .LBB103_4
; %bb.3:
	s_load_b32 s24, s[24:25], 0x0
.LBB103_4:
	s_wait_kmcnt 0x0
	s_cmp_eq_f32 s2, 0
	s_cselect_b32 s3, -1, 0
	s_cmp_eq_f32 s24, 1.0
	s_cselect_b32 s4, -1, 0
	s_delay_alu instid0(SALU_CYCLE_1) | instskip(NEXT) | instid1(SALU_CYCLE_1)
	s_and_b32 s3, s3, s4
	s_and_b32 vcc_lo, exec_lo, s3
	s_cbranch_vccnz .LBB103_30
; %bb.5:
	s_clause 0x1
	s_load_b32 s3, s[0:1], 0x9c
	s_load_b128 s[12:15], s[0:1], 0x8
	s_bfe_u32 s4, ttmp6, 0x4000c
	s_and_b32 s5, ttmp6, 15
	s_add_co_i32 s4, s4, 1
	s_getreg_b32 s6, hwreg(HW_REG_IB_STS2, 6, 4)
	s_mul_i32 s4, ttmp9, s4
	s_delay_alu instid0(SALU_CYCLE_1) | instskip(SKIP_4) | instid1(SALU_CYCLE_1)
	s_add_co_i32 s5, s5, s4
	s_wait_kmcnt 0x0
	s_and_b32 s3, s3, 0xffff
	s_cmp_eq_u32 s6, 0
	s_cselect_b32 s4, ttmp9, s5
	v_mad_u32 v1, s4, s3, v0
	v_mov_b32_e32 v3, 0
	s_mov_b32 s3, exec_lo
	s_delay_alu instid0(VALU_DEP_2) | instskip(NEXT) | instid1(VALU_DEP_1)
	v_lshrrev_b32_e32 v2, 6, v1
	v_cmpx_gt_i64_e64 s[12:13], v[2:3]
	s_cbranch_execz .LBB103_30
; %bb.6:
	v_cmp_lt_i64_e64 s3, s[14:15], 1
	s_and_b32 vcc_lo, exec_lo, s3
	s_cbranch_vccnz .LBB103_30
; %bb.7:
	s_load_b256 s[4:11], s[0:1], 0x30
	v_dual_mov_b32 v3, 0 :: v_dual_lshlrev_b32 v2, 3, v2
	s_load_b128 s[16:19], s[0:1], 0x68
	v_bfe_u32 v6, v1, 5, 1
	s_mov_b32 s13, 0
	s_mov_b32 s12, s21
	v_dual_lshrrev_b32 v8, 5, v0 :: v_dual_bitop2_b32 v0, 31, v0 bitop3:0x40
	s_delay_alu instid0(VALU_DEP_1) | instskip(SKIP_1) | instid1(VALU_DEP_3)
	v_dual_mov_b32 v7, v3 :: v_dual_lshlrev_b32 v22, 8, v8
	v_mul_u32_u24_e32 v8, 0x60, v8
	v_mul_u32_u24_e32 v16, 3, v0
	s_delay_alu instid0(VALU_DEP_2)
	v_or_b32_e32 v24, 0x200, v8
	s_wait_kmcnt 0x0
	global_load_b128 v[10:13], v2, s[4:5]
	s_wait_xcnt 0x0
	v_lshrrev_b32_e32 v2, 5, v1
	s_clause 0x1
	s_load_b32 s3, s[0:1], 0x0
	s_load_b64 s[4:5], s[0:1], 0x50
	v_mov_b32_e32 v1, v3
	v_lshl_or_b32 v23, v0, 3, v22
	v_add_nc_u32_e32 v25, v24, v16
	v_mul_u64_e32 v[4:5], s[18:19], v[2:3]
	v_lshlrev_b32_e32 v2, 2, v2
	s_delay_alu instid0(VALU_DEP_1)
	v_add_nc_u64_e32 v[2:3], s[16:17], v[2:3]
	s_wait_kmcnt 0x0
	s_cmp_eq_u32 s3, 0
	s_cselect_b32 s1, -1, 0
	s_cmp_neq_f32 s24, 0
	v_cndmask_b32_e64 v9, 0, 1, s1
	s_cselect_b32 s3, -1, 0
	s_cmp_lg_u32 s20, 1
	s_delay_alu instid0(VALU_DEP_1)
	v_lshlrev_b64_e32 v[14:15], v9, v[6:7]
	s_cselect_b32 s20, -1, 0
	s_and_b32 s1, s1, exec_lo
	v_lshl_add_u64 v[4:5], v[4:5], 2, s[16:17]
	s_mov_b64 s[16:17], 0
	s_wait_loadcnt 0x0
	v_sub_nc_u64_e64 v[6:7], v[10:11], s[12:13]
	v_sub_nc_u64_e64 v[8:9], v[12:13], s[12:13]
	v_cmp_lt_i64_e64 s0, v[10:11], v[12:13]
	v_add_nc_u64_e32 v[10:11], s[8:9], v[14:15]
	s_cselect_b32 s8, 1, 2
	s_mov_b32 s9, s13
	s_branch .LBB103_9
.LBB103_8:                              ;   in Loop: Header=BB103_9 Depth=1
	s_wait_xcnt 0x0
	s_or_b32 exec_lo, exec_lo, s1
	s_add_nc_u64 s[16:17], s[16:17], 32
	s_delay_alu instid0(SALU_CYCLE_1)
	v_cmp_lt_i64_e64 s1, s[16:17], s[14:15]
	s_and_b32 vcc_lo, exec_lo, s1
	s_cbranch_vccz .LBB103_30
.LBB103_9:                              ; =>This Loop Header: Depth=1
                                        ;     Child Loop BB103_12 Depth 2
                                        ;       Child Loop BB103_16 Depth 3
	v_dual_mov_b32 v13, s17 :: v_dual_bitop2_b32 v12, s16, v0 bitop3:0x54
	v_mov_b32_e32 v26, 0
	s_and_saveexec_b32 s21, s0
	s_cbranch_execz .LBB103_18
; %bb.10:                               ;   in Loop: Header=BB103_9 Depth=1
	s_delay_alu instid0(VALU_DEP_2)
	v_add_nc_u64_e32 v[14:15], s[10:11], v[12:13]
	v_mov_b64_e32 v[16:17], v[6:7]
	v_mov_b32_e32 v26, 0
	s_mov_b32 s22, 0
	v_cmp_gt_i64_e32 vcc_lo, s[14:15], v[12:13]
	s_branch .LBB103_12
.LBB103_11:                             ;   in Loop: Header=BB103_12 Depth=2
	s_or_b32 exec_lo, exec_lo, s1
	v_add_nc_u64_e32 v[16:17], 32, v[16:17]
	s_delay_alu instid0(VALU_DEP_1) | instskip(SKIP_1) | instid1(SALU_CYCLE_1)
	v_cmp_ge_i64_e64 s1, v[16:17], v[8:9]
	s_or_b32 s22, s1, s22
	s_and_not1_b32 exec_lo, exec_lo, s22
	s_cbranch_execz .LBB103_17
.LBB103_12:                             ;   Parent Loop BB103_9 Depth=1
                                        ; =>  This Loop Header: Depth=2
                                        ;       Child Loop BB103_16 Depth 3
	s_delay_alu instid0(VALU_DEP_3) | instskip(SKIP_3) | instid1(VALU_DEP_3)
	v_add_nc_u64_e32 v[20:21], v[16:17], v[0:1]
	v_mov_b64_e32 v[18:19], 0
	v_dual_mov_b32 v27, 0 :: v_dual_mov_b32 v28, 0
	s_mov_b32 s23, exec_lo
	v_cmpx_lt_i64_e64 v[20:21], v[8:9]
	s_cbranch_execz .LBB103_14
; %bb.13:                               ;   in Loop: Header=BB103_12 Depth=2
	v_lshl_add_u64 v[18:19], v[20:21], 3, s[6:7]
	v_lshl_add_u64 v[20:21], v[20:21], 2, v[10:11]
	global_load_b64 v[18:19], v[18:19], off
	v_add_nc_u64_e32 v[30:31], s[8:9], v[20:21]
	s_clause 0x1
	global_load_u8 v27, v[20:21], off
	global_load_u8 v28, v[30:31], off
	s_wait_loadcnt 0x2
	s_wait_xcnt 0x2
	v_sub_nc_u64_e64 v[18:19], v[18:19], s[12:13]
	s_delay_alu instid0(VALU_DEP_1)
	v_lshlrev_b64_e32 v[18:19], 1, v[18:19]
.LBB103_14:                             ;   in Loop: Header=BB103_12 Depth=2
	s_wait_xcnt 0x0
	s_or_b32 exec_lo, exec_lo, s23
	ds_store_b64 v23, v[18:19]
	s_wait_loadcnt 0x1
	ds_store_b8 v25, v27
	s_wait_loadcnt 0x0
	ds_store_b8 v25, v28 offset:1
	s_wait_dscnt 0x0
	s_barrier_signal -1
	s_barrier_wait -1
	s_and_saveexec_b32 s1, vcc_lo
	s_cbranch_execz .LBB103_11
; %bb.15:                               ;   in Loop: Header=BB103_12 Depth=2
	v_mov_b32_e32 v18, v22
	s_mov_b32 s23, 0
.LBB103_16:                             ;   Parent Loop BB103_9 Depth=1
                                        ;     Parent Loop BB103_12 Depth=2
                                        ; =>    This Inner Loop Header: Depth=3
	ds_load_b128 v[28:31], v18
	v_add_nc_u32_e32 v18, 16, v18
	s_wait_dscnt 0x0
	v_mad_nc_u64_u32 v[20:21], v28, s4, v[14:15]
	v_mad_nc_u64_u32 v[32:33], v30, s4, v[14:15]
	s_delay_alu instid0(VALU_DEP_2) | instskip(NEXT) | instid1(VALU_DEP_2)
	v_mad_u32 v19, v29, s4, v21
	v_mad_u32 v27, v31, s4, v33
	s_delay_alu instid0(VALU_DEP_2) | instskip(NEXT) | instid1(VALU_DEP_2)
	v_mad_u32 v21, v28, s5, v19
	v_mad_u32 v33, v30, s5, v27
	s_delay_alu instid0(VALU_DEP_2)
	v_add_nc_u64_e32 v[28:29], s[4:5], v[20:21]
	s_clause 0x1
	global_load_i8 v19, v[20:21], off
	global_load_i8 v27, v[28:29], off
	s_wait_xcnt 0x1
	v_add_nc_u64_e32 v[20:21], s[4:5], v[32:33]
	s_clause 0x1
	global_load_i8 v28, v[32:33], off
	global_load_i8 v29, v[20:21], off
	s_wait_loadcnt 0x3
	v_cvt_f32_i32_e32 v19, v19
	s_wait_xcnt 0x0
	v_add_nc_u32_e32 v20, s23, v24
	ds_load_u16 v21, v20
	ds_load_i8 v30, v20 offset:3
	ds_load_i8 v20, v20 offset:4
	s_wait_loadcnt 0x1
	v_cvt_f32_i32_e32 v28, v28
	s_add_co_i32 s23, s23, 6
	s_delay_alu instid0(SALU_CYCLE_1) | instskip(SKIP_3) | instid1(VALU_DEP_2)
	s_cmp_lg_u32 s23, 0x60
	s_wait_dscnt 0x2
	v_bfe_i32 v31, v21, 0, 8
	v_ashrrev_i16 v21, 8, v21
	v_bfe_i32 v31, v31, 0, 16
	s_delay_alu instid0(VALU_DEP_2) | instskip(NEXT) | instid1(VALU_DEP_2)
	v_bfe_i32 v21, v21, 0, 16
	v_cvt_f32_i32_e32 v31, v31
	s_delay_alu instid0(VALU_DEP_2) | instskip(NEXT) | instid1(VALU_DEP_2)
	v_cvt_f32_i32_e32 v21, v21
	v_fmac_f32_e32 v26, v31, v19
	v_cvt_f32_i32_e32 v19, v27
	s_wait_dscnt 0x1
	v_cvt_f32_i32_e32 v27, v30
	s_delay_alu instid0(VALU_DEP_2)
	v_fmac_f32_e32 v26, v21, v19
	s_wait_dscnt 0x0
	v_cvt_f32_i32_e32 v19, v20
	s_wait_loadcnt 0x0
	v_cvt_f32_i32_e32 v20, v29
	v_fmac_f32_e32 v26, v27, v28
	s_delay_alu instid0(VALU_DEP_1)
	v_fmac_f32_e32 v26, v19, v20
	s_cbranch_scc1 .LBB103_16
	s_branch .LBB103_11
.LBB103_17:                             ;   in Loop: Header=BB103_9 Depth=1
	s_or_b32 exec_lo, exec_lo, s22
.LBB103_18:                             ;   in Loop: Header=BB103_9 Depth=1
	s_delay_alu instid0(SALU_CYCLE_1) | instskip(NEXT) | instid1(SALU_CYCLE_1)
	s_or_b32 exec_lo, exec_lo, s21
	s_mov_b32 s1, exec_lo
	v_cmpx_gt_i64_e64 s[14:15], v[12:13]
	s_cbranch_execz .LBB103_8
; %bb.19:                               ;   in Loop: Header=BB103_9 Depth=1
	s_and_b32 vcc_lo, exec_lo, s3
	s_cbranch_vccz .LBB103_25
; %bb.20:                               ;   in Loop: Header=BB103_9 Depth=1
	s_and_b32 vcc_lo, exec_lo, s20
	s_mov_b32 s21, -1
	s_cbranch_vccz .LBB103_22
; %bb.21:                               ;   in Loop: Header=BB103_9 Depth=1
	v_lshl_add_u64 v[14:15], v[12:13], 2, v[4:5]
	v_mul_f32_e32 v17, s2, v26
	s_mov_b32 s21, 0
	global_load_b32 v16, v[14:15], off
	s_wait_loadcnt 0x0
	v_fmac_f32_e32 v17, s24, v16
	global_store_b32 v[14:15], v17, off
.LBB103_22:                             ;   in Loop: Header=BB103_9 Depth=1
	s_and_not1_b32 vcc_lo, exec_lo, s21
	s_cbranch_vccnz .LBB103_24
; %bb.23:                               ;   in Loop: Header=BB103_9 Depth=1
	s_wait_xcnt 0x0
	v_mul_u64_e32 v[14:15], s[18:19], v[12:13]
	v_mul_f32_e32 v17, s2, v26
	s_delay_alu instid0(VALU_DEP_2)
	v_lshl_add_u64 v[14:15], v[14:15], 2, v[2:3]
	global_load_b32 v16, v[14:15], off
	s_wait_loadcnt 0x0
	v_fmac_f32_e32 v17, s24, v16
	global_store_b32 v[14:15], v17, off
.LBB103_24:                             ;   in Loop: Header=BB103_9 Depth=1
	s_cbranch_execnz .LBB103_8
	s_branch .LBB103_26
.LBB103_25:                             ;   in Loop: Header=BB103_9 Depth=1
.LBB103_26:                             ;   in Loop: Header=BB103_9 Depth=1
	s_wait_xcnt 0x0
	v_mul_f32_e32 v14, s2, v26
	s_and_b32 vcc_lo, exec_lo, s20
	s_mov_b32 s21, -1
	s_cbranch_vccz .LBB103_28
; %bb.27:                               ;   in Loop: Header=BB103_9 Depth=1
	v_lshl_add_u64 v[16:17], v[12:13], 2, v[4:5]
	s_mov_b32 s21, 0
	global_store_b32 v[16:17], v14, off
.LBB103_28:                             ;   in Loop: Header=BB103_9 Depth=1
	s_and_not1_b32 vcc_lo, exec_lo, s21
	s_cbranch_vccnz .LBB103_8
; %bb.29:                               ;   in Loop: Header=BB103_9 Depth=1
	v_mul_u64_e32 v[12:13], s[18:19], v[12:13]
	s_delay_alu instid0(VALU_DEP_1)
	v_lshl_add_u64 v[12:13], v[12:13], 2, v[2:3]
	global_store_b32 v[12:13], v14, off
	s_branch .LBB103_8
.LBB103_30:
	s_endpgm
	.section	.rodata,"a",@progbits
	.p2align	6, 0x0
	.amdhsa_kernel _ZN9rocsparseL29bsrmmnt_small_blockdim_kernelILj64ELj32ELj2EllaaffEEv20rocsparse_direction_T3_S2_llNS_24const_host_device_scalarIT7_EEPKT2_PKS2_PKT4_PKT5_llS5_PT6_ll16rocsparse_order_21rocsparse_index_base_b
		.amdhsa_group_segment_fixed_size 704
		.amdhsa_private_segment_fixed_size 0
		.amdhsa_kernarg_size 400
		.amdhsa_user_sgpr_count 2
		.amdhsa_user_sgpr_dispatch_ptr 0
		.amdhsa_user_sgpr_queue_ptr 0
		.amdhsa_user_sgpr_kernarg_segment_ptr 1
		.amdhsa_user_sgpr_dispatch_id 0
		.amdhsa_user_sgpr_kernarg_preload_length 0
		.amdhsa_user_sgpr_kernarg_preload_offset 0
		.amdhsa_user_sgpr_private_segment_size 0
		.amdhsa_wavefront_size32 1
		.amdhsa_uses_dynamic_stack 0
		.amdhsa_enable_private_segment 0
		.amdhsa_system_sgpr_workgroup_id_x 1
		.amdhsa_system_sgpr_workgroup_id_y 0
		.amdhsa_system_sgpr_workgroup_id_z 0
		.amdhsa_system_sgpr_workgroup_info 0
		.amdhsa_system_vgpr_workitem_id 0
		.amdhsa_next_free_vgpr 34
		.amdhsa_next_free_sgpr 26
		.amdhsa_named_barrier_count 0
		.amdhsa_reserve_vcc 1
		.amdhsa_float_round_mode_32 0
		.amdhsa_float_round_mode_16_64 0
		.amdhsa_float_denorm_mode_32 3
		.amdhsa_float_denorm_mode_16_64 3
		.amdhsa_fp16_overflow 0
		.amdhsa_memory_ordered 1
		.amdhsa_forward_progress 1
		.amdhsa_inst_pref_size 11
		.amdhsa_round_robin_scheduling 0
		.amdhsa_exception_fp_ieee_invalid_op 0
		.amdhsa_exception_fp_denorm_src 0
		.amdhsa_exception_fp_ieee_div_zero 0
		.amdhsa_exception_fp_ieee_overflow 0
		.amdhsa_exception_fp_ieee_underflow 0
		.amdhsa_exception_fp_ieee_inexact 0
		.amdhsa_exception_int_div_zero 0
	.end_amdhsa_kernel
	.section	.text._ZN9rocsparseL29bsrmmnt_small_blockdim_kernelILj64ELj32ELj2EllaaffEEv20rocsparse_direction_T3_S2_llNS_24const_host_device_scalarIT7_EEPKT2_PKS2_PKT4_PKT5_llS5_PT6_ll16rocsparse_order_21rocsparse_index_base_b,"axG",@progbits,_ZN9rocsparseL29bsrmmnt_small_blockdim_kernelILj64ELj32ELj2EllaaffEEv20rocsparse_direction_T3_S2_llNS_24const_host_device_scalarIT7_EEPKT2_PKS2_PKT4_PKT5_llS5_PT6_ll16rocsparse_order_21rocsparse_index_base_b,comdat
.Lfunc_end103:
	.size	_ZN9rocsparseL29bsrmmnt_small_blockdim_kernelILj64ELj32ELj2EllaaffEEv20rocsparse_direction_T3_S2_llNS_24const_host_device_scalarIT7_EEPKT2_PKS2_PKT4_PKT5_llS5_PT6_ll16rocsparse_order_21rocsparse_index_base_b, .Lfunc_end103-_ZN9rocsparseL29bsrmmnt_small_blockdim_kernelILj64ELj32ELj2EllaaffEEv20rocsparse_direction_T3_S2_llNS_24const_host_device_scalarIT7_EEPKT2_PKS2_PKT4_PKT5_llS5_PT6_ll16rocsparse_order_21rocsparse_index_base_b
                                        ; -- End function
	.set _ZN9rocsparseL29bsrmmnt_small_blockdim_kernelILj64ELj32ELj2EllaaffEEv20rocsparse_direction_T3_S2_llNS_24const_host_device_scalarIT7_EEPKT2_PKS2_PKT4_PKT5_llS5_PT6_ll16rocsparse_order_21rocsparse_index_base_b.num_vgpr, 34
	.set _ZN9rocsparseL29bsrmmnt_small_blockdim_kernelILj64ELj32ELj2EllaaffEEv20rocsparse_direction_T3_S2_llNS_24const_host_device_scalarIT7_EEPKT2_PKS2_PKT4_PKT5_llS5_PT6_ll16rocsparse_order_21rocsparse_index_base_b.num_agpr, 0
	.set _ZN9rocsparseL29bsrmmnt_small_blockdim_kernelILj64ELj32ELj2EllaaffEEv20rocsparse_direction_T3_S2_llNS_24const_host_device_scalarIT7_EEPKT2_PKS2_PKT4_PKT5_llS5_PT6_ll16rocsparse_order_21rocsparse_index_base_b.numbered_sgpr, 26
	.set _ZN9rocsparseL29bsrmmnt_small_blockdim_kernelILj64ELj32ELj2EllaaffEEv20rocsparse_direction_T3_S2_llNS_24const_host_device_scalarIT7_EEPKT2_PKS2_PKT4_PKT5_llS5_PT6_ll16rocsparse_order_21rocsparse_index_base_b.num_named_barrier, 0
	.set _ZN9rocsparseL29bsrmmnt_small_blockdim_kernelILj64ELj32ELj2EllaaffEEv20rocsparse_direction_T3_S2_llNS_24const_host_device_scalarIT7_EEPKT2_PKS2_PKT4_PKT5_llS5_PT6_ll16rocsparse_order_21rocsparse_index_base_b.private_seg_size, 0
	.set _ZN9rocsparseL29bsrmmnt_small_blockdim_kernelILj64ELj32ELj2EllaaffEEv20rocsparse_direction_T3_S2_llNS_24const_host_device_scalarIT7_EEPKT2_PKS2_PKT4_PKT5_llS5_PT6_ll16rocsparse_order_21rocsparse_index_base_b.uses_vcc, 1
	.set _ZN9rocsparseL29bsrmmnt_small_blockdim_kernelILj64ELj32ELj2EllaaffEEv20rocsparse_direction_T3_S2_llNS_24const_host_device_scalarIT7_EEPKT2_PKS2_PKT4_PKT5_llS5_PT6_ll16rocsparse_order_21rocsparse_index_base_b.uses_flat_scratch, 0
	.set _ZN9rocsparseL29bsrmmnt_small_blockdim_kernelILj64ELj32ELj2EllaaffEEv20rocsparse_direction_T3_S2_llNS_24const_host_device_scalarIT7_EEPKT2_PKS2_PKT4_PKT5_llS5_PT6_ll16rocsparse_order_21rocsparse_index_base_b.has_dyn_sized_stack, 0
	.set _ZN9rocsparseL29bsrmmnt_small_blockdim_kernelILj64ELj32ELj2EllaaffEEv20rocsparse_direction_T3_S2_llNS_24const_host_device_scalarIT7_EEPKT2_PKS2_PKT4_PKT5_llS5_PT6_ll16rocsparse_order_21rocsparse_index_base_b.has_recursion, 0
	.set _ZN9rocsparseL29bsrmmnt_small_blockdim_kernelILj64ELj32ELj2EllaaffEEv20rocsparse_direction_T3_S2_llNS_24const_host_device_scalarIT7_EEPKT2_PKS2_PKT4_PKT5_llS5_PT6_ll16rocsparse_order_21rocsparse_index_base_b.has_indirect_call, 0
	.section	.AMDGPU.csdata,"",@progbits
; Kernel info:
; codeLenInByte = 1388
; TotalNumSgprs: 28
; NumVgprs: 34
; ScratchSize: 0
; MemoryBound: 0
; FloatMode: 240
; IeeeMode: 1
; LDSByteSize: 704 bytes/workgroup (compile time only)
; SGPRBlocks: 0
; VGPRBlocks: 2
; NumSGPRsForWavesPerEU: 28
; NumVGPRsForWavesPerEU: 34
; NamedBarCnt: 0
; Occupancy: 16
; WaveLimiterHint : 1
; COMPUTE_PGM_RSRC2:SCRATCH_EN: 0
; COMPUTE_PGM_RSRC2:USER_SGPR: 2
; COMPUTE_PGM_RSRC2:TRAP_HANDLER: 0
; COMPUTE_PGM_RSRC2:TGID_X_EN: 1
; COMPUTE_PGM_RSRC2:TGID_Y_EN: 0
; COMPUTE_PGM_RSRC2:TGID_Z_EN: 0
; COMPUTE_PGM_RSRC2:TIDIG_COMP_CNT: 0
	.section	.text._ZN9rocsparseL29bsrmmnt_small_blockdim_kernelILj64ELj64ELj2EllaaffEEv20rocsparse_direction_T3_S2_llNS_24const_host_device_scalarIT7_EEPKT2_PKS2_PKT4_PKT5_llS5_PT6_ll16rocsparse_order_21rocsparse_index_base_b,"axG",@progbits,_ZN9rocsparseL29bsrmmnt_small_blockdim_kernelILj64ELj64ELj2EllaaffEEv20rocsparse_direction_T3_S2_llNS_24const_host_device_scalarIT7_EEPKT2_PKS2_PKT4_PKT5_llS5_PT6_ll16rocsparse_order_21rocsparse_index_base_b,comdat
	.globl	_ZN9rocsparseL29bsrmmnt_small_blockdim_kernelILj64ELj64ELj2EllaaffEEv20rocsparse_direction_T3_S2_llNS_24const_host_device_scalarIT7_EEPKT2_PKS2_PKT4_PKT5_llS5_PT6_ll16rocsparse_order_21rocsparse_index_base_b ; -- Begin function _ZN9rocsparseL29bsrmmnt_small_blockdim_kernelILj64ELj64ELj2EllaaffEEv20rocsparse_direction_T3_S2_llNS_24const_host_device_scalarIT7_EEPKT2_PKS2_PKT4_PKT5_llS5_PT6_ll16rocsparse_order_21rocsparse_index_base_b
	.p2align	8
	.type	_ZN9rocsparseL29bsrmmnt_small_blockdim_kernelILj64ELj64ELj2EllaaffEEv20rocsparse_direction_T3_S2_llNS_24const_host_device_scalarIT7_EEPKT2_PKS2_PKT4_PKT5_llS5_PT6_ll16rocsparse_order_21rocsparse_index_base_b,@function
_ZN9rocsparseL29bsrmmnt_small_blockdim_kernelILj64ELj64ELj2EllaaffEEv20rocsparse_direction_T3_S2_llNS_24const_host_device_scalarIT7_EEPKT2_PKS2_PKT4_PKT5_llS5_PT6_ll16rocsparse_order_21rocsparse_index_base_b: ; @_ZN9rocsparseL29bsrmmnt_small_blockdim_kernelILj64ELj64ELj2EllaaffEEv20rocsparse_direction_T3_S2_llNS_24const_host_device_scalarIT7_EEPKT2_PKS2_PKT4_PKT5_llS5_PT6_ll16rocsparse_order_21rocsparse_index_base_b
; %bb.0:
	s_clause 0x2
	s_load_b96 s[20:22], s[0:1], 0x80
	s_load_b64 s[2:3], s[0:1], 0x28
	s_load_b64 s[24:25], s[0:1], 0x60
	s_wait_kmcnt 0x0
	s_bitcmp1_b32 s22, 0
	s_cselect_b32 s4, -1, 0
	s_delay_alu instid0(SALU_CYCLE_1)
	s_and_b32 vcc_lo, exec_lo, s4
	s_xor_b32 s4, s4, -1
	s_cbranch_vccnz .LBB104_2
; %bb.1:
	s_load_b32 s2, s[2:3], 0x0
.LBB104_2:
	s_and_not1_b32 vcc_lo, exec_lo, s4
	s_cbranch_vccnz .LBB104_4
; %bb.3:
	s_load_b32 s24, s[24:25], 0x0
.LBB104_4:
	s_wait_kmcnt 0x0
	s_cmp_eq_f32 s2, 0
	s_cselect_b32 s3, -1, 0
	s_cmp_eq_f32 s24, 1.0
	s_cselect_b32 s4, -1, 0
	s_delay_alu instid0(SALU_CYCLE_1) | instskip(NEXT) | instid1(SALU_CYCLE_1)
	s_and_b32 s3, s3, s4
	s_and_b32 vcc_lo, exec_lo, s3
	s_cbranch_vccnz .LBB104_30
; %bb.5:
	s_clause 0x1
	s_load_b32 s3, s[0:1], 0x9c
	s_load_b128 s[12:15], s[0:1], 0x8
	s_bfe_u32 s4, ttmp6, 0x4000c
	s_and_b32 s5, ttmp6, 15
	s_add_co_i32 s4, s4, 1
	s_getreg_b32 s6, hwreg(HW_REG_IB_STS2, 6, 4)
	s_mul_i32 s4, ttmp9, s4
	s_delay_alu instid0(SALU_CYCLE_1) | instskip(SKIP_4) | instid1(SALU_CYCLE_1)
	s_add_co_i32 s5, s5, s4
	s_wait_kmcnt 0x0
	s_and_b32 s3, s3, 0xffff
	s_cmp_eq_u32 s6, 0
	s_cselect_b32 s4, ttmp9, s5
	v_mad_u32 v1, s4, s3, v0
	v_mov_b32_e32 v3, 0
	s_mov_b32 s3, exec_lo
	s_delay_alu instid0(VALU_DEP_2) | instskip(NEXT) | instid1(VALU_DEP_1)
	v_lshrrev_b32_e32 v2, 7, v1
	v_cmpx_gt_i64_e64 s[12:13], v[2:3]
	s_cbranch_execz .LBB104_30
; %bb.6:
	v_cmp_lt_i64_e64 s3, s[14:15], 1
	s_and_b32 vcc_lo, exec_lo, s3
	s_cbranch_vccnz .LBB104_30
; %bb.7:
	s_load_b256 s[4:11], s[0:1], 0x30
	v_dual_mov_b32 v3, 0 :: v_dual_lshlrev_b32 v2, 3, v2
	s_load_b128 s[16:19], s[0:1], 0x68
	v_bfe_u32 v6, v1, 6, 1
	v_mul_u32_u24_e32 v16, 3, v0
	s_mov_b32 s13, 0
	s_mov_b32 s12, s21
	v_lshlrev_b32_e32 v22, 3, v0
	s_delay_alu instid0(VALU_DEP_2)
	v_add_nc_u32_e32 v23, 0x200, v16
	s_wait_kmcnt 0x0
	global_load_b128 v[10:13], v2, s[4:5]
	s_wait_xcnt 0x0
	v_lshrrev_b32_e32 v2, 6, v1
	s_clause 0x1
	s_load_b32 s3, s[0:1], 0x0
	s_load_b64 s[4:5], s[0:1], 0x50
	v_dual_mov_b32 v7, v3 :: v_dual_mov_b32 v1, v3
	v_mul_u64_e32 v[4:5], s[18:19], v[2:3]
	v_lshlrev_b32_e32 v2, 2, v2
	s_delay_alu instid0(VALU_DEP_1)
	v_add_nc_u64_e32 v[2:3], s[16:17], v[2:3]
	s_wait_kmcnt 0x0
	s_cmp_eq_u32 s3, 0
	s_cselect_b32 s1, -1, 0
	s_cmp_neq_f32 s24, 0
	v_cndmask_b32_e64 v8, 0, 1, s1
	s_cselect_b32 s3, -1, 0
	s_cmp_lg_u32 s20, 1
	s_delay_alu instid0(VALU_DEP_1)
	v_lshlrev_b64_e32 v[14:15], v8, v[6:7]
	s_cselect_b32 s20, -1, 0
	s_and_b32 s1, s1, exec_lo
	v_lshl_add_u64 v[4:5], v[4:5], 2, s[16:17]
	s_mov_b64 s[16:17], 0
	s_wait_loadcnt 0x0
	v_sub_nc_u64_e64 v[6:7], v[10:11], s[12:13]
	v_sub_nc_u64_e64 v[8:9], v[12:13], s[12:13]
	v_cmp_lt_i64_e64 s0, v[10:11], v[12:13]
	v_add_nc_u64_e32 v[10:11], s[8:9], v[14:15]
	s_cselect_b32 s8, 1, 2
	s_mov_b32 s9, s13
	s_branch .LBB104_9
.LBB104_8:                              ;   in Loop: Header=BB104_9 Depth=1
	s_wait_xcnt 0x0
	s_or_b32 exec_lo, exec_lo, s1
	s_add_nc_u64 s[16:17], s[16:17], 64
	s_delay_alu instid0(SALU_CYCLE_1)
	v_cmp_lt_i64_e64 s1, s[16:17], s[14:15]
	s_and_b32 vcc_lo, exec_lo, s1
	s_cbranch_vccz .LBB104_30
.LBB104_9:                              ; =>This Loop Header: Depth=1
                                        ;     Child Loop BB104_12 Depth 2
                                        ;       Child Loop BB104_16 Depth 3
	v_dual_mov_b32 v13, s17 :: v_dual_bitop2_b32 v12, s16, v0 bitop3:0x54
	v_mov_b32_e32 v24, 0
	s_and_saveexec_b32 s21, s0
	s_cbranch_execz .LBB104_18
; %bb.10:                               ;   in Loop: Header=BB104_9 Depth=1
	s_delay_alu instid0(VALU_DEP_2)
	v_add_nc_u64_e32 v[14:15], s[10:11], v[12:13]
	v_mov_b64_e32 v[16:17], v[6:7]
	v_mov_b32_e32 v24, 0
	s_mov_b32 s22, 0
	v_cmp_gt_i64_e32 vcc_lo, s[14:15], v[12:13]
	s_branch .LBB104_12
.LBB104_11:                             ;   in Loop: Header=BB104_12 Depth=2
	s_or_b32 exec_lo, exec_lo, s1
	v_add_nc_u64_e32 v[16:17], 64, v[16:17]
	s_delay_alu instid0(VALU_DEP_1) | instskip(SKIP_1) | instid1(SALU_CYCLE_1)
	v_cmp_ge_i64_e64 s1, v[16:17], v[8:9]
	s_or_b32 s22, s1, s22
	s_and_not1_b32 exec_lo, exec_lo, s22
	s_cbranch_execz .LBB104_17
.LBB104_12:                             ;   Parent Loop BB104_9 Depth=1
                                        ; =>  This Loop Header: Depth=2
                                        ;       Child Loop BB104_16 Depth 3
	s_delay_alu instid0(VALU_DEP_3) | instskip(SKIP_3) | instid1(VALU_DEP_3)
	v_add_nc_u64_e32 v[20:21], v[16:17], v[0:1]
	v_mov_b64_e32 v[18:19], 0
	v_dual_mov_b32 v25, 0 :: v_dual_mov_b32 v26, 0
	s_mov_b32 s23, exec_lo
	v_cmpx_lt_i64_e64 v[20:21], v[8:9]
	s_cbranch_execz .LBB104_14
; %bb.13:                               ;   in Loop: Header=BB104_12 Depth=2
	v_lshl_add_u64 v[18:19], v[20:21], 3, s[6:7]
	v_lshl_add_u64 v[20:21], v[20:21], 2, v[10:11]
	global_load_b64 v[18:19], v[18:19], off
	v_add_nc_u64_e32 v[28:29], s[8:9], v[20:21]
	s_clause 0x1
	global_load_u8 v25, v[20:21], off
	global_load_u8 v26, v[28:29], off
	s_wait_loadcnt 0x2
	s_wait_xcnt 0x2
	v_sub_nc_u64_e64 v[18:19], v[18:19], s[12:13]
	s_delay_alu instid0(VALU_DEP_1)
	v_lshlrev_b64_e32 v[18:19], 1, v[18:19]
.LBB104_14:                             ;   in Loop: Header=BB104_12 Depth=2
	s_wait_xcnt 0x0
	s_or_b32 exec_lo, exec_lo, s23
	ds_store_b64 v22, v[18:19]
	s_wait_loadcnt 0x1
	ds_store_b8 v23, v25
	s_wait_loadcnt 0x0
	ds_store_b8 v23, v26 offset:1
	s_wait_dscnt 0x0
	s_barrier_signal -1
	s_barrier_wait -1
	s_and_saveexec_b32 s1, vcc_lo
	s_cbranch_execz .LBB104_11
; %bb.15:                               ;   in Loop: Header=BB104_12 Depth=2
	v_mov_b32_e32 v18, 0
	s_mov_b32 s23, 0
.LBB104_16:                             ;   Parent Loop BB104_9 Depth=1
                                        ;     Parent Loop BB104_12 Depth=2
                                        ; =>    This Inner Loop Header: Depth=3
	ds_load_b128 v[26:29], v18
	v_add_nc_u32_e32 v18, 16, v18
	s_wait_dscnt 0x0
	v_mad_nc_u64_u32 v[20:21], v26, s4, v[14:15]
	v_mad_nc_u64_u32 v[30:31], v28, s4, v[14:15]
	s_delay_alu instid0(VALU_DEP_2) | instskip(NEXT) | instid1(VALU_DEP_2)
	v_mad_u32 v19, v27, s4, v21
	v_mad_u32 v25, v29, s4, v31
	s_delay_alu instid0(VALU_DEP_2) | instskip(NEXT) | instid1(VALU_DEP_2)
	v_mad_u32 v21, v26, s5, v19
	v_mad_u32 v31, v28, s5, v25
	s_delay_alu instid0(VALU_DEP_2)
	v_add_nc_u64_e32 v[26:27], s[4:5], v[20:21]
	s_clause 0x1
	global_load_i8 v19, v[20:21], off
	global_load_i8 v25, v[26:27], off
	s_wait_xcnt 0x1
	v_add_nc_u64_e32 v[20:21], s[4:5], v[30:31]
	s_clause 0x1
	global_load_i8 v26, v[30:31], off
	global_load_i8 v27, v[20:21], off
	s_wait_xcnt 0x0
	v_add_nc_u32_e64 v20, 0x200, s23
	ds_load_u16 v21, v20
	ds_load_i8 v28, v20 offset:3
	ds_load_i8 v20, v20 offset:4
	s_add_co_i32 s23, s23, 6
	s_delay_alu instid0(SALU_CYCLE_1) | instskip(SKIP_3) | instid1(VALU_DEP_2)
	s_cmp_lg_u32 s23, 0xc0
	s_wait_dscnt 0x2
	v_bfe_i32 v29, v21, 0, 8
	v_ashrrev_i16 v21, 8, v21
	v_bfe_i32 v29, v29, 0, 16
	s_delay_alu instid0(VALU_DEP_2) | instskip(NEXT) | instid1(VALU_DEP_2)
	v_bfe_i32 v21, v21, 0, 16
	v_cvt_f32_i32_e32 v29, v29
	s_delay_alu instid0(VALU_DEP_2) | instskip(SKIP_2) | instid1(VALU_DEP_1)
	v_cvt_f32_i32_e32 v21, v21
	s_wait_loadcnt 0x3
	v_cvt_f32_i32_e32 v19, v19
	v_fmac_f32_e32 v24, v29, v19
	s_wait_loadcnt 0x2
	v_cvt_f32_i32_e32 v19, v25
	s_wait_dscnt 0x1
	v_cvt_f32_i32_e32 v25, v28
	s_wait_loadcnt 0x1
	v_cvt_f32_i32_e32 v26, v26
	v_fmac_f32_e32 v24, v21, v19
	s_wait_dscnt 0x0
	v_cvt_f32_i32_e32 v19, v20
	s_wait_loadcnt 0x0
	v_cvt_f32_i32_e32 v20, v27
	v_fmac_f32_e32 v24, v25, v26
	s_delay_alu instid0(VALU_DEP_1)
	v_fmac_f32_e32 v24, v19, v20
	s_cbranch_scc1 .LBB104_16
	s_branch .LBB104_11
.LBB104_17:                             ;   in Loop: Header=BB104_9 Depth=1
	s_or_b32 exec_lo, exec_lo, s22
.LBB104_18:                             ;   in Loop: Header=BB104_9 Depth=1
	s_delay_alu instid0(SALU_CYCLE_1) | instskip(NEXT) | instid1(SALU_CYCLE_1)
	s_or_b32 exec_lo, exec_lo, s21
	s_mov_b32 s1, exec_lo
	v_cmpx_gt_i64_e64 s[14:15], v[12:13]
	s_cbranch_execz .LBB104_8
; %bb.19:                               ;   in Loop: Header=BB104_9 Depth=1
	s_and_b32 vcc_lo, exec_lo, s3
	s_cbranch_vccz .LBB104_25
; %bb.20:                               ;   in Loop: Header=BB104_9 Depth=1
	s_and_b32 vcc_lo, exec_lo, s20
	s_mov_b32 s21, -1
	s_cbranch_vccz .LBB104_22
; %bb.21:                               ;   in Loop: Header=BB104_9 Depth=1
	v_lshl_add_u64 v[14:15], v[12:13], 2, v[4:5]
	v_mul_f32_e32 v17, s2, v24
	s_mov_b32 s21, 0
	global_load_b32 v16, v[14:15], off
	s_wait_loadcnt 0x0
	v_fmac_f32_e32 v17, s24, v16
	global_store_b32 v[14:15], v17, off
.LBB104_22:                             ;   in Loop: Header=BB104_9 Depth=1
	s_and_not1_b32 vcc_lo, exec_lo, s21
	s_cbranch_vccnz .LBB104_24
; %bb.23:                               ;   in Loop: Header=BB104_9 Depth=1
	s_wait_xcnt 0x0
	v_mul_u64_e32 v[14:15], s[18:19], v[12:13]
	v_mul_f32_e32 v17, s2, v24
	s_delay_alu instid0(VALU_DEP_2)
	v_lshl_add_u64 v[14:15], v[14:15], 2, v[2:3]
	global_load_b32 v16, v[14:15], off
	s_wait_loadcnt 0x0
	v_fmac_f32_e32 v17, s24, v16
	global_store_b32 v[14:15], v17, off
.LBB104_24:                             ;   in Loop: Header=BB104_9 Depth=1
	s_cbranch_execnz .LBB104_8
	s_branch .LBB104_26
.LBB104_25:                             ;   in Loop: Header=BB104_9 Depth=1
.LBB104_26:                             ;   in Loop: Header=BB104_9 Depth=1
	s_wait_xcnt 0x0
	v_mul_f32_e32 v14, s2, v24
	s_and_b32 vcc_lo, exec_lo, s20
	s_mov_b32 s21, -1
	s_cbranch_vccz .LBB104_28
; %bb.27:                               ;   in Loop: Header=BB104_9 Depth=1
	v_lshl_add_u64 v[16:17], v[12:13], 2, v[4:5]
	s_mov_b32 s21, 0
	global_store_b32 v[16:17], v14, off
.LBB104_28:                             ;   in Loop: Header=BB104_9 Depth=1
	s_and_not1_b32 vcc_lo, exec_lo, s21
	s_cbranch_vccnz .LBB104_8
; %bb.29:                               ;   in Loop: Header=BB104_9 Depth=1
	v_mul_u64_e32 v[12:13], s[18:19], v[12:13]
	s_delay_alu instid0(VALU_DEP_1)
	v_lshl_add_u64 v[12:13], v[12:13], 2, v[2:3]
	global_store_b32 v[12:13], v14, off
	s_branch .LBB104_8
.LBB104_30:
	s_endpgm
	.section	.rodata,"a",@progbits
	.p2align	6, 0x0
	.amdhsa_kernel _ZN9rocsparseL29bsrmmnt_small_blockdim_kernelILj64ELj64ELj2EllaaffEEv20rocsparse_direction_T3_S2_llNS_24const_host_device_scalarIT7_EEPKT2_PKS2_PKT4_PKT5_llS5_PT6_ll16rocsparse_order_21rocsparse_index_base_b
		.amdhsa_group_segment_fixed_size 704
		.amdhsa_private_segment_fixed_size 0
		.amdhsa_kernarg_size 400
		.amdhsa_user_sgpr_count 2
		.amdhsa_user_sgpr_dispatch_ptr 0
		.amdhsa_user_sgpr_queue_ptr 0
		.amdhsa_user_sgpr_kernarg_segment_ptr 1
		.amdhsa_user_sgpr_dispatch_id 0
		.amdhsa_user_sgpr_kernarg_preload_length 0
		.amdhsa_user_sgpr_kernarg_preload_offset 0
		.amdhsa_user_sgpr_private_segment_size 0
		.amdhsa_wavefront_size32 1
		.amdhsa_uses_dynamic_stack 0
		.amdhsa_enable_private_segment 0
		.amdhsa_system_sgpr_workgroup_id_x 1
		.amdhsa_system_sgpr_workgroup_id_y 0
		.amdhsa_system_sgpr_workgroup_id_z 0
		.amdhsa_system_sgpr_workgroup_info 0
		.amdhsa_system_vgpr_workitem_id 0
		.amdhsa_next_free_vgpr 32
		.amdhsa_next_free_sgpr 26
		.amdhsa_named_barrier_count 0
		.amdhsa_reserve_vcc 1
		.amdhsa_float_round_mode_32 0
		.amdhsa_float_round_mode_16_64 0
		.amdhsa_float_denorm_mode_32 3
		.amdhsa_float_denorm_mode_16_64 3
		.amdhsa_fp16_overflow 0
		.amdhsa_memory_ordered 1
		.amdhsa_forward_progress 1
		.amdhsa_inst_pref_size 11
		.amdhsa_round_robin_scheduling 0
		.amdhsa_exception_fp_ieee_invalid_op 0
		.amdhsa_exception_fp_denorm_src 0
		.amdhsa_exception_fp_ieee_div_zero 0
		.amdhsa_exception_fp_ieee_overflow 0
		.amdhsa_exception_fp_ieee_underflow 0
		.amdhsa_exception_fp_ieee_inexact 0
		.amdhsa_exception_int_div_zero 0
	.end_amdhsa_kernel
	.section	.text._ZN9rocsparseL29bsrmmnt_small_blockdim_kernelILj64ELj64ELj2EllaaffEEv20rocsparse_direction_T3_S2_llNS_24const_host_device_scalarIT7_EEPKT2_PKS2_PKT4_PKT5_llS5_PT6_ll16rocsparse_order_21rocsparse_index_base_b,"axG",@progbits,_ZN9rocsparseL29bsrmmnt_small_blockdim_kernelILj64ELj64ELj2EllaaffEEv20rocsparse_direction_T3_S2_llNS_24const_host_device_scalarIT7_EEPKT2_PKS2_PKT4_PKT5_llS5_PT6_ll16rocsparse_order_21rocsparse_index_base_b,comdat
.Lfunc_end104:
	.size	_ZN9rocsparseL29bsrmmnt_small_blockdim_kernelILj64ELj64ELj2EllaaffEEv20rocsparse_direction_T3_S2_llNS_24const_host_device_scalarIT7_EEPKT2_PKS2_PKT4_PKT5_llS5_PT6_ll16rocsparse_order_21rocsparse_index_base_b, .Lfunc_end104-_ZN9rocsparseL29bsrmmnt_small_blockdim_kernelILj64ELj64ELj2EllaaffEEv20rocsparse_direction_T3_S2_llNS_24const_host_device_scalarIT7_EEPKT2_PKS2_PKT4_PKT5_llS5_PT6_ll16rocsparse_order_21rocsparse_index_base_b
                                        ; -- End function
	.set _ZN9rocsparseL29bsrmmnt_small_blockdim_kernelILj64ELj64ELj2EllaaffEEv20rocsparse_direction_T3_S2_llNS_24const_host_device_scalarIT7_EEPKT2_PKS2_PKT4_PKT5_llS5_PT6_ll16rocsparse_order_21rocsparse_index_base_b.num_vgpr, 32
	.set _ZN9rocsparseL29bsrmmnt_small_blockdim_kernelILj64ELj64ELj2EllaaffEEv20rocsparse_direction_T3_S2_llNS_24const_host_device_scalarIT7_EEPKT2_PKS2_PKT4_PKT5_llS5_PT6_ll16rocsparse_order_21rocsparse_index_base_b.num_agpr, 0
	.set _ZN9rocsparseL29bsrmmnt_small_blockdim_kernelILj64ELj64ELj2EllaaffEEv20rocsparse_direction_T3_S2_llNS_24const_host_device_scalarIT7_EEPKT2_PKS2_PKT4_PKT5_llS5_PT6_ll16rocsparse_order_21rocsparse_index_base_b.numbered_sgpr, 26
	.set _ZN9rocsparseL29bsrmmnt_small_blockdim_kernelILj64ELj64ELj2EllaaffEEv20rocsparse_direction_T3_S2_llNS_24const_host_device_scalarIT7_EEPKT2_PKS2_PKT4_PKT5_llS5_PT6_ll16rocsparse_order_21rocsparse_index_base_b.num_named_barrier, 0
	.set _ZN9rocsparseL29bsrmmnt_small_blockdim_kernelILj64ELj64ELj2EllaaffEEv20rocsparse_direction_T3_S2_llNS_24const_host_device_scalarIT7_EEPKT2_PKS2_PKT4_PKT5_llS5_PT6_ll16rocsparse_order_21rocsparse_index_base_b.private_seg_size, 0
	.set _ZN9rocsparseL29bsrmmnt_small_blockdim_kernelILj64ELj64ELj2EllaaffEEv20rocsparse_direction_T3_S2_llNS_24const_host_device_scalarIT7_EEPKT2_PKS2_PKT4_PKT5_llS5_PT6_ll16rocsparse_order_21rocsparse_index_base_b.uses_vcc, 1
	.set _ZN9rocsparseL29bsrmmnt_small_blockdim_kernelILj64ELj64ELj2EllaaffEEv20rocsparse_direction_T3_S2_llNS_24const_host_device_scalarIT7_EEPKT2_PKS2_PKT4_PKT5_llS5_PT6_ll16rocsparse_order_21rocsparse_index_base_b.uses_flat_scratch, 0
	.set _ZN9rocsparseL29bsrmmnt_small_blockdim_kernelILj64ELj64ELj2EllaaffEEv20rocsparse_direction_T3_S2_llNS_24const_host_device_scalarIT7_EEPKT2_PKS2_PKT4_PKT5_llS5_PT6_ll16rocsparse_order_21rocsparse_index_base_b.has_dyn_sized_stack, 0
	.set _ZN9rocsparseL29bsrmmnt_small_blockdim_kernelILj64ELj64ELj2EllaaffEEv20rocsparse_direction_T3_S2_llNS_24const_host_device_scalarIT7_EEPKT2_PKS2_PKT4_PKT5_llS5_PT6_ll16rocsparse_order_21rocsparse_index_base_b.has_recursion, 0
	.set _ZN9rocsparseL29bsrmmnt_small_blockdim_kernelILj64ELj64ELj2EllaaffEEv20rocsparse_direction_T3_S2_llNS_24const_host_device_scalarIT7_EEPKT2_PKS2_PKT4_PKT5_llS5_PT6_ll16rocsparse_order_21rocsparse_index_base_b.has_indirect_call, 0
	.section	.AMDGPU.csdata,"",@progbits
; Kernel info:
; codeLenInByte = 1364
; TotalNumSgprs: 28
; NumVgprs: 32
; ScratchSize: 0
; MemoryBound: 0
; FloatMode: 240
; IeeeMode: 1
; LDSByteSize: 704 bytes/workgroup (compile time only)
; SGPRBlocks: 0
; VGPRBlocks: 1
; NumSGPRsForWavesPerEU: 28
; NumVGPRsForWavesPerEU: 32
; NamedBarCnt: 0
; Occupancy: 16
; WaveLimiterHint : 1
; COMPUTE_PGM_RSRC2:SCRATCH_EN: 0
; COMPUTE_PGM_RSRC2:USER_SGPR: 2
; COMPUTE_PGM_RSRC2:TRAP_HANDLER: 0
; COMPUTE_PGM_RSRC2:TGID_X_EN: 1
; COMPUTE_PGM_RSRC2:TGID_Y_EN: 0
; COMPUTE_PGM_RSRC2:TGID_Z_EN: 0
; COMPUTE_PGM_RSRC2:TIDIG_COMP_CNT: 0
	.section	.AMDGPU.gpr_maximums,"",@progbits
	.set amdgpu.max_num_vgpr, 0
	.set amdgpu.max_num_agpr, 0
	.set amdgpu.max_num_sgpr, 0
	.section	.AMDGPU.csdata,"",@progbits
	.type	__hip_cuid_f4f0eccb775317e0,@object ; @__hip_cuid_f4f0eccb775317e0
	.section	.bss,"aw",@nobits
	.globl	__hip_cuid_f4f0eccb775317e0
__hip_cuid_f4f0eccb775317e0:
	.byte	0                               ; 0x0
	.size	__hip_cuid_f4f0eccb775317e0, 1

	.ident	"AMD clang version 22.0.0git (https://github.com/RadeonOpenCompute/llvm-project roc-7.2.4 26084 f58b06dce1f9c15707c5f808fd002e18c2accf7e)"
	.section	".note.GNU-stack","",@progbits
	.addrsig
	.addrsig_sym __hip_cuid_f4f0eccb775317e0
	.amdgpu_metadata
---
amdhsa.kernels:
  - .args:
      - .offset:         0
        .size:           4
        .value_kind:     by_value
      - .offset:         4
        .size:           4
        .value_kind:     by_value
      - .offset:         8
        .size:           4
        .value_kind:     by_value
      - .offset:         16
        .size:           8
        .value_kind:     by_value
      - .offset:         24
        .size:           8
        .value_kind:     by_value
      - .offset:         32
        .size:           8
        .value_kind:     by_value
      - .actual_access:  read_only
        .address_space:  global
        .offset:         40
        .size:           8
        .value_kind:     global_buffer
      - .actual_access:  read_only
        .address_space:  global
        .offset:         48
        .size:           8
        .value_kind:     global_buffer
      - .actual_access:  read_only
        .address_space:  global
        .offset:         56
        .size:           8
        .value_kind:     global_buffer
      - .actual_access:  read_only
        .address_space:  global
        .offset:         64
        .size:           8
        .value_kind:     global_buffer
      - .offset:         72
        .size:           8
        .value_kind:     by_value
      - .offset:         80
        .size:           8
        .value_kind:     by_value
      - .offset:         88
        .size:           8
        .value_kind:     by_value
      - .address_space:  global
        .offset:         96
        .size:           8
        .value_kind:     global_buffer
      - .offset:         104
        .size:           8
        .value_kind:     by_value
      - .offset:         112
        .size:           8
        .value_kind:     by_value
      - .offset:         120
        .size:           4
        .value_kind:     by_value
      - .offset:         124
        .size:           4
        .value_kind:     by_value
      - .offset:         128
        .size:           1
        .value_kind:     by_value
      - .offset:         136
        .size:           4
        .value_kind:     hidden_block_count_x
      - .offset:         140
        .size:           4
        .value_kind:     hidden_block_count_y
      - .offset:         144
        .size:           4
        .value_kind:     hidden_block_count_z
      - .offset:         148
        .size:           2
        .value_kind:     hidden_group_size_x
      - .offset:         150
        .size:           2
        .value_kind:     hidden_group_size_y
      - .offset:         152
        .size:           2
        .value_kind:     hidden_group_size_z
      - .offset:         154
        .size:           2
        .value_kind:     hidden_remainder_x
      - .offset:         156
        .size:           2
        .value_kind:     hidden_remainder_y
      - .offset:         158
        .size:           2
        .value_kind:     hidden_remainder_z
      - .offset:         176
        .size:           8
        .value_kind:     hidden_global_offset_x
      - .offset:         184
        .size:           8
        .value_kind:     hidden_global_offset_y
      - .offset:         192
        .size:           8
        .value_kind:     hidden_global_offset_z
      - .offset:         200
        .size:           2
        .value_kind:     hidden_grid_dims
    .group_segment_fixed_size: 1024
    .kernarg_segment_align: 8
    .kernarg_segment_size: 392
    .language:       OpenCL C
    .language_version:
      - 2
      - 0
    .max_flat_workgroup_size: 64
    .name:           _ZN9rocsparseL29bsrmmnn_small_blockdim_kernelILj64ELj8ELj2EiiffffEEv20rocsparse_direction_T3_S2_llNS_24const_host_device_scalarIT7_EEPKT2_PKS2_PKT4_PKT5_llS5_PT6_ll16rocsparse_order_21rocsparse_index_base_b
    .private_segment_fixed_size: 0
    .sgpr_count:     28
    .sgpr_spill_count: 0
    .symbol:         _ZN9rocsparseL29bsrmmnn_small_blockdim_kernelILj64ELj8ELj2EiiffffEEv20rocsparse_direction_T3_S2_llNS_24const_host_device_scalarIT7_EEPKT2_PKS2_PKT4_PKT5_llS5_PT6_ll16rocsparse_order_21rocsparse_index_base_b.kd
    .uniform_work_group_size: 1
    .uses_dynamic_stack: false
    .vgpr_count:     48
    .vgpr_spill_count: 0
    .wavefront_size: 32
  - .args:
      - .offset:         0
        .size:           4
        .value_kind:     by_value
      - .offset:         4
        .size:           4
        .value_kind:     by_value
      - .offset:         8
        .size:           4
        .value_kind:     by_value
      - .offset:         16
        .size:           8
        .value_kind:     by_value
      - .offset:         24
        .size:           8
        .value_kind:     by_value
      - .offset:         32
        .size:           8
        .value_kind:     by_value
      - .actual_access:  read_only
        .address_space:  global
        .offset:         40
        .size:           8
        .value_kind:     global_buffer
      - .actual_access:  read_only
        .address_space:  global
        .offset:         48
        .size:           8
        .value_kind:     global_buffer
      - .actual_access:  read_only
        .address_space:  global
        .offset:         56
        .size:           8
        .value_kind:     global_buffer
      - .actual_access:  read_only
        .address_space:  global
        .offset:         64
        .size:           8
        .value_kind:     global_buffer
      - .offset:         72
        .size:           8
        .value_kind:     by_value
      - .offset:         80
        .size:           8
        .value_kind:     by_value
      - .offset:         88
        .size:           8
        .value_kind:     by_value
      - .address_space:  global
        .offset:         96
        .size:           8
        .value_kind:     global_buffer
      - .offset:         104
        .size:           8
        .value_kind:     by_value
      - .offset:         112
        .size:           8
        .value_kind:     by_value
      - .offset:         120
        .size:           4
        .value_kind:     by_value
      - .offset:         124
        .size:           4
        .value_kind:     by_value
      - .offset:         128
        .size:           1
        .value_kind:     by_value
      - .offset:         136
        .size:           4
        .value_kind:     hidden_block_count_x
      - .offset:         140
        .size:           4
        .value_kind:     hidden_block_count_y
      - .offset:         144
        .size:           4
        .value_kind:     hidden_block_count_z
      - .offset:         148
        .size:           2
        .value_kind:     hidden_group_size_x
      - .offset:         150
        .size:           2
        .value_kind:     hidden_group_size_y
      - .offset:         152
        .size:           2
        .value_kind:     hidden_group_size_z
      - .offset:         154
        .size:           2
        .value_kind:     hidden_remainder_x
      - .offset:         156
        .size:           2
        .value_kind:     hidden_remainder_y
      - .offset:         158
        .size:           2
        .value_kind:     hidden_remainder_z
      - .offset:         176
        .size:           8
        .value_kind:     hidden_global_offset_x
      - .offset:         184
        .size:           8
        .value_kind:     hidden_global_offset_y
      - .offset:         192
        .size:           8
        .value_kind:     hidden_global_offset_z
      - .offset:         200
        .size:           2
        .value_kind:     hidden_grid_dims
    .group_segment_fixed_size: 1024
    .kernarg_segment_align: 8
    .kernarg_segment_size: 392
    .language:       OpenCL C
    .language_version:
      - 2
      - 0
    .max_flat_workgroup_size: 64
    .name:           _ZN9rocsparseL29bsrmmnn_small_blockdim_kernelILj64ELj8ELj2EliffffEEv20rocsparse_direction_T3_S2_llNS_24const_host_device_scalarIT7_EEPKT2_PKS2_PKT4_PKT5_llS5_PT6_ll16rocsparse_order_21rocsparse_index_base_b
    .private_segment_fixed_size: 0
    .sgpr_count:     28
    .sgpr_spill_count: 0
    .symbol:         _ZN9rocsparseL29bsrmmnn_small_blockdim_kernelILj64ELj8ELj2EliffffEEv20rocsparse_direction_T3_S2_llNS_24const_host_device_scalarIT7_EEPKT2_PKS2_PKT4_PKT5_llS5_PT6_ll16rocsparse_order_21rocsparse_index_base_b.kd
    .uniform_work_group_size: 1
    .uses_dynamic_stack: false
    .vgpr_count:     54
    .vgpr_spill_count: 0
    .wavefront_size: 32
  - .args:
      - .offset:         0
        .size:           4
        .value_kind:     by_value
      - .offset:         8
        .size:           8
        .value_kind:     by_value
      - .offset:         16
        .size:           8
        .value_kind:     by_value
      - .offset:         24
        .size:           8
        .value_kind:     by_value
      - .offset:         32
        .size:           8
        .value_kind:     by_value
      - .offset:         40
        .size:           8
        .value_kind:     by_value
      - .actual_access:  read_only
        .address_space:  global
        .offset:         48
        .size:           8
        .value_kind:     global_buffer
      - .actual_access:  read_only
        .address_space:  global
        .offset:         56
        .size:           8
        .value_kind:     global_buffer
      - .actual_access:  read_only
        .address_space:  global
        .offset:         64
        .size:           8
        .value_kind:     global_buffer
      - .actual_access:  read_only
        .address_space:  global
        .offset:         72
        .size:           8
        .value_kind:     global_buffer
      - .offset:         80
        .size:           8
        .value_kind:     by_value
      - .offset:         88
        .size:           8
        .value_kind:     by_value
      - .offset:         96
        .size:           8
        .value_kind:     by_value
      - .address_space:  global
        .offset:         104
        .size:           8
        .value_kind:     global_buffer
      - .offset:         112
        .size:           8
        .value_kind:     by_value
      - .offset:         120
        .size:           8
        .value_kind:     by_value
      - .offset:         128
        .size:           4
        .value_kind:     by_value
      - .offset:         132
        .size:           4
        .value_kind:     by_value
      - .offset:         136
        .size:           1
        .value_kind:     by_value
      - .offset:         144
        .size:           4
        .value_kind:     hidden_block_count_x
      - .offset:         148
        .size:           4
        .value_kind:     hidden_block_count_y
      - .offset:         152
        .size:           4
        .value_kind:     hidden_block_count_z
      - .offset:         156
        .size:           2
        .value_kind:     hidden_group_size_x
      - .offset:         158
        .size:           2
        .value_kind:     hidden_group_size_y
      - .offset:         160
        .size:           2
        .value_kind:     hidden_group_size_z
      - .offset:         162
        .size:           2
        .value_kind:     hidden_remainder_x
      - .offset:         164
        .size:           2
        .value_kind:     hidden_remainder_y
      - .offset:         166
        .size:           2
        .value_kind:     hidden_remainder_z
      - .offset:         184
        .size:           8
        .value_kind:     hidden_global_offset_x
      - .offset:         192
        .size:           8
        .value_kind:     hidden_global_offset_y
      - .offset:         200
        .size:           8
        .value_kind:     hidden_global_offset_z
      - .offset:         208
        .size:           2
        .value_kind:     hidden_grid_dims
    .group_segment_fixed_size: 1280
    .kernarg_segment_align: 8
    .kernarg_segment_size: 400
    .language:       OpenCL C
    .language_version:
      - 2
      - 0
    .max_flat_workgroup_size: 64
    .name:           _ZN9rocsparseL29bsrmmnn_small_blockdim_kernelILj64ELj8ELj2EllffffEEv20rocsparse_direction_T3_S2_llNS_24const_host_device_scalarIT7_EEPKT2_PKS2_PKT4_PKT5_llS5_PT6_ll16rocsparse_order_21rocsparse_index_base_b
    .private_segment_fixed_size: 0
    .sgpr_count:     31
    .sgpr_spill_count: 0
    .symbol:         _ZN9rocsparseL29bsrmmnn_small_blockdim_kernelILj64ELj8ELj2EllffffEEv20rocsparse_direction_T3_S2_llNS_24const_host_device_scalarIT7_EEPKT2_PKS2_PKT4_PKT5_llS5_PT6_ll16rocsparse_order_21rocsparse_index_base_b.kd
    .uniform_work_group_size: 1
    .uses_dynamic_stack: false
    .vgpr_count:     54
    .vgpr_spill_count: 0
    .wavefront_size: 32
  - .args:
      - .offset:         0
        .size:           4
        .value_kind:     by_value
      - .offset:         4
        .size:           4
        .value_kind:     by_value
      - .offset:         8
        .size:           4
        .value_kind:     by_value
      - .offset:         16
        .size:           8
        .value_kind:     by_value
      - .offset:         24
        .size:           8
        .value_kind:     by_value
      - .offset:         32
        .size:           8
        .value_kind:     by_value
      - .actual_access:  read_only
        .address_space:  global
        .offset:         40
        .size:           8
        .value_kind:     global_buffer
      - .actual_access:  read_only
        .address_space:  global
        .offset:         48
        .size:           8
        .value_kind:     global_buffer
      - .actual_access:  read_only
        .address_space:  global
        .offset:         56
        .size:           8
        .value_kind:     global_buffer
      - .actual_access:  read_only
        .address_space:  global
        .offset:         64
        .size:           8
        .value_kind:     global_buffer
      - .offset:         72
        .size:           8
        .value_kind:     by_value
      - .offset:         80
        .size:           8
        .value_kind:     by_value
      - .offset:         88
        .size:           8
        .value_kind:     by_value
      - .address_space:  global
        .offset:         96
        .size:           8
        .value_kind:     global_buffer
      - .offset:         104
        .size:           8
        .value_kind:     by_value
      - .offset:         112
        .size:           8
        .value_kind:     by_value
      - .offset:         120
        .size:           4
        .value_kind:     by_value
      - .offset:         124
        .size:           4
        .value_kind:     by_value
      - .offset:         128
        .size:           1
        .value_kind:     by_value
      - .offset:         136
        .size:           4
        .value_kind:     hidden_block_count_x
      - .offset:         140
        .size:           4
        .value_kind:     hidden_block_count_y
      - .offset:         144
        .size:           4
        .value_kind:     hidden_block_count_z
      - .offset:         148
        .size:           2
        .value_kind:     hidden_group_size_x
      - .offset:         150
        .size:           2
        .value_kind:     hidden_group_size_y
      - .offset:         152
        .size:           2
        .value_kind:     hidden_group_size_z
      - .offset:         154
        .size:           2
        .value_kind:     hidden_remainder_x
      - .offset:         156
        .size:           2
        .value_kind:     hidden_remainder_y
      - .offset:         158
        .size:           2
        .value_kind:     hidden_remainder_z
      - .offset:         176
        .size:           8
        .value_kind:     hidden_global_offset_x
      - .offset:         184
        .size:           8
        .value_kind:     hidden_global_offset_y
      - .offset:         192
        .size:           8
        .value_kind:     hidden_global_offset_z
      - .offset:         200
        .size:           2
        .value_kind:     hidden_grid_dims
    .group_segment_fixed_size: 1792
    .kernarg_segment_align: 8
    .kernarg_segment_size: 392
    .language:       OpenCL C
    .language_version:
      - 2
      - 0
    .max_flat_workgroup_size: 64
    .name:           _ZN9rocsparseL29bsrmmnn_small_blockdim_kernelILj64ELj8ELj2EiiddddEEv20rocsparse_direction_T3_S2_llNS_24const_host_device_scalarIT7_EEPKT2_PKS2_PKT4_PKT5_llS5_PT6_ll16rocsparse_order_21rocsparse_index_base_b
    .private_segment_fixed_size: 0
    .sgpr_count:     25
    .sgpr_spill_count: 0
    .symbol:         _ZN9rocsparseL29bsrmmnn_small_blockdim_kernelILj64ELj8ELj2EiiddddEEv20rocsparse_direction_T3_S2_llNS_24const_host_device_scalarIT7_EEPKT2_PKS2_PKT4_PKT5_llS5_PT6_ll16rocsparse_order_21rocsparse_index_base_b.kd
    .uniform_work_group_size: 1
    .uses_dynamic_stack: false
    .vgpr_count:     62
    .vgpr_spill_count: 0
    .wavefront_size: 32
  - .args:
      - .offset:         0
        .size:           4
        .value_kind:     by_value
      - .offset:         4
        .size:           4
        .value_kind:     by_value
      - .offset:         8
        .size:           4
        .value_kind:     by_value
      - .offset:         16
        .size:           8
        .value_kind:     by_value
      - .offset:         24
        .size:           8
        .value_kind:     by_value
      - .offset:         32
        .size:           8
        .value_kind:     by_value
      - .actual_access:  read_only
        .address_space:  global
        .offset:         40
        .size:           8
        .value_kind:     global_buffer
      - .actual_access:  read_only
        .address_space:  global
        .offset:         48
        .size:           8
        .value_kind:     global_buffer
      - .actual_access:  read_only
        .address_space:  global
        .offset:         56
        .size:           8
        .value_kind:     global_buffer
      - .actual_access:  read_only
        .address_space:  global
        .offset:         64
        .size:           8
        .value_kind:     global_buffer
      - .offset:         72
        .size:           8
        .value_kind:     by_value
      - .offset:         80
        .size:           8
        .value_kind:     by_value
      - .offset:         88
        .size:           8
        .value_kind:     by_value
      - .address_space:  global
        .offset:         96
        .size:           8
        .value_kind:     global_buffer
      - .offset:         104
        .size:           8
        .value_kind:     by_value
      - .offset:         112
        .size:           8
        .value_kind:     by_value
      - .offset:         120
        .size:           4
        .value_kind:     by_value
      - .offset:         124
        .size:           4
        .value_kind:     by_value
      - .offset:         128
        .size:           1
        .value_kind:     by_value
      - .offset:         136
        .size:           4
        .value_kind:     hidden_block_count_x
      - .offset:         140
        .size:           4
        .value_kind:     hidden_block_count_y
      - .offset:         144
        .size:           4
        .value_kind:     hidden_block_count_z
      - .offset:         148
        .size:           2
        .value_kind:     hidden_group_size_x
      - .offset:         150
        .size:           2
        .value_kind:     hidden_group_size_y
      - .offset:         152
        .size:           2
        .value_kind:     hidden_group_size_z
      - .offset:         154
        .size:           2
        .value_kind:     hidden_remainder_x
      - .offset:         156
        .size:           2
        .value_kind:     hidden_remainder_y
      - .offset:         158
        .size:           2
        .value_kind:     hidden_remainder_z
      - .offset:         176
        .size:           8
        .value_kind:     hidden_global_offset_x
      - .offset:         184
        .size:           8
        .value_kind:     hidden_global_offset_y
      - .offset:         192
        .size:           8
        .value_kind:     hidden_global_offset_z
      - .offset:         200
        .size:           2
        .value_kind:     hidden_grid_dims
    .group_segment_fixed_size: 1792
    .kernarg_segment_align: 8
    .kernarg_segment_size: 392
    .language:       OpenCL C
    .language_version:
      - 2
      - 0
    .max_flat_workgroup_size: 64
    .name:           _ZN9rocsparseL29bsrmmnn_small_blockdim_kernelILj64ELj8ELj2EliddddEEv20rocsparse_direction_T3_S2_llNS_24const_host_device_scalarIT7_EEPKT2_PKS2_PKT4_PKT5_llS5_PT6_ll16rocsparse_order_21rocsparse_index_base_b
    .private_segment_fixed_size: 0
    .sgpr_count:     25
    .sgpr_spill_count: 0
    .symbol:         _ZN9rocsparseL29bsrmmnn_small_blockdim_kernelILj64ELj8ELj2EliddddEEv20rocsparse_direction_T3_S2_llNS_24const_host_device_scalarIT7_EEPKT2_PKS2_PKT4_PKT5_llS5_PT6_ll16rocsparse_order_21rocsparse_index_base_b.kd
    .uniform_work_group_size: 1
    .uses_dynamic_stack: false
    .vgpr_count:     68
    .vgpr_spill_count: 0
    .wavefront_size: 32
  - .args:
      - .offset:         0
        .size:           4
        .value_kind:     by_value
      - .offset:         8
        .size:           8
        .value_kind:     by_value
      - .offset:         16
        .size:           8
        .value_kind:     by_value
      - .offset:         24
        .size:           8
        .value_kind:     by_value
      - .offset:         32
        .size:           8
        .value_kind:     by_value
      - .offset:         40
        .size:           8
        .value_kind:     by_value
      - .actual_access:  read_only
        .address_space:  global
        .offset:         48
        .size:           8
        .value_kind:     global_buffer
      - .actual_access:  read_only
        .address_space:  global
        .offset:         56
        .size:           8
        .value_kind:     global_buffer
      - .actual_access:  read_only
        .address_space:  global
        .offset:         64
        .size:           8
        .value_kind:     global_buffer
      - .actual_access:  read_only
        .address_space:  global
        .offset:         72
        .size:           8
        .value_kind:     global_buffer
      - .offset:         80
        .size:           8
        .value_kind:     by_value
      - .offset:         88
        .size:           8
        .value_kind:     by_value
      - .offset:         96
        .size:           8
        .value_kind:     by_value
      - .address_space:  global
        .offset:         104
        .size:           8
        .value_kind:     global_buffer
      - .offset:         112
        .size:           8
        .value_kind:     by_value
      - .offset:         120
        .size:           8
        .value_kind:     by_value
      - .offset:         128
        .size:           4
        .value_kind:     by_value
      - .offset:         132
        .size:           4
        .value_kind:     by_value
      - .offset:         136
        .size:           1
        .value_kind:     by_value
      - .offset:         144
        .size:           4
        .value_kind:     hidden_block_count_x
      - .offset:         148
        .size:           4
        .value_kind:     hidden_block_count_y
      - .offset:         152
        .size:           4
        .value_kind:     hidden_block_count_z
      - .offset:         156
        .size:           2
        .value_kind:     hidden_group_size_x
      - .offset:         158
        .size:           2
        .value_kind:     hidden_group_size_y
      - .offset:         160
        .size:           2
        .value_kind:     hidden_group_size_z
      - .offset:         162
        .size:           2
        .value_kind:     hidden_remainder_x
      - .offset:         164
        .size:           2
        .value_kind:     hidden_remainder_y
      - .offset:         166
        .size:           2
        .value_kind:     hidden_remainder_z
      - .offset:         184
        .size:           8
        .value_kind:     hidden_global_offset_x
      - .offset:         192
        .size:           8
        .value_kind:     hidden_global_offset_y
      - .offset:         200
        .size:           8
        .value_kind:     hidden_global_offset_z
      - .offset:         208
        .size:           2
        .value_kind:     hidden_grid_dims
    .group_segment_fixed_size: 2048
    .kernarg_segment_align: 8
    .kernarg_segment_size: 400
    .language:       OpenCL C
    .language_version:
      - 2
      - 0
    .max_flat_workgroup_size: 64
    .name:           _ZN9rocsparseL29bsrmmnn_small_blockdim_kernelILj64ELj8ELj2EllddddEEv20rocsparse_direction_T3_S2_llNS_24const_host_device_scalarIT7_EEPKT2_PKS2_PKT4_PKT5_llS5_PT6_ll16rocsparse_order_21rocsparse_index_base_b
    .private_segment_fixed_size: 0
    .sgpr_count:     30
    .sgpr_spill_count: 0
    .symbol:         _ZN9rocsparseL29bsrmmnn_small_blockdim_kernelILj64ELj8ELj2EllddddEEv20rocsparse_direction_T3_S2_llNS_24const_host_device_scalarIT7_EEPKT2_PKS2_PKT4_PKT5_llS5_PT6_ll16rocsparse_order_21rocsparse_index_base_b.kd
    .uniform_work_group_size: 1
    .uses_dynamic_stack: false
    .vgpr_count:     68
    .vgpr_spill_count: 0
    .wavefront_size: 32
  - .args:
      - .offset:         0
        .size:           4
        .value_kind:     by_value
      - .offset:         4
        .size:           4
        .value_kind:     by_value
      - .offset:         8
        .size:           4
        .value_kind:     by_value
      - .offset:         16
        .size:           8
        .value_kind:     by_value
      - .offset:         24
        .size:           8
        .value_kind:     by_value
      - .offset:         32
        .size:           8
        .value_kind:     by_value
      - .actual_access:  read_only
        .address_space:  global
        .offset:         40
        .size:           8
        .value_kind:     global_buffer
      - .actual_access:  read_only
        .address_space:  global
        .offset:         48
        .size:           8
        .value_kind:     global_buffer
      - .actual_access:  read_only
        .address_space:  global
        .offset:         56
        .size:           8
        .value_kind:     global_buffer
      - .actual_access:  read_only
        .address_space:  global
        .offset:         64
        .size:           8
        .value_kind:     global_buffer
      - .offset:         72
        .size:           8
        .value_kind:     by_value
      - .offset:         80
        .size:           8
        .value_kind:     by_value
      - .offset:         88
        .size:           8
        .value_kind:     by_value
      - .address_space:  global
        .offset:         96
        .size:           8
        .value_kind:     global_buffer
      - .offset:         104
        .size:           8
        .value_kind:     by_value
      - .offset:         112
        .size:           8
        .value_kind:     by_value
      - .offset:         120
        .size:           4
        .value_kind:     by_value
      - .offset:         124
        .size:           4
        .value_kind:     by_value
      - .offset:         128
        .size:           1
        .value_kind:     by_value
      - .offset:         136
        .size:           4
        .value_kind:     hidden_block_count_x
      - .offset:         140
        .size:           4
        .value_kind:     hidden_block_count_y
      - .offset:         144
        .size:           4
        .value_kind:     hidden_block_count_z
      - .offset:         148
        .size:           2
        .value_kind:     hidden_group_size_x
      - .offset:         150
        .size:           2
        .value_kind:     hidden_group_size_y
      - .offset:         152
        .size:           2
        .value_kind:     hidden_group_size_z
      - .offset:         154
        .size:           2
        .value_kind:     hidden_remainder_x
      - .offset:         156
        .size:           2
        .value_kind:     hidden_remainder_y
      - .offset:         158
        .size:           2
        .value_kind:     hidden_remainder_z
      - .offset:         176
        .size:           8
        .value_kind:     hidden_global_offset_x
      - .offset:         184
        .size:           8
        .value_kind:     hidden_global_offset_y
      - .offset:         192
        .size:           8
        .value_kind:     hidden_global_offset_z
      - .offset:         200
        .size:           2
        .value_kind:     hidden_grid_dims
    .group_segment_fixed_size: 1792
    .kernarg_segment_align: 8
    .kernarg_segment_size: 392
    .language:       OpenCL C
    .language_version:
      - 2
      - 0
    .max_flat_workgroup_size: 64
    .name:           _ZN9rocsparseL29bsrmmnn_small_blockdim_kernelILj64ELj8ELj2Eii21rocsparse_complex_numIfES2_S2_S2_EEv20rocsparse_direction_T3_S4_llNS_24const_host_device_scalarIT7_EEPKT2_PKS4_PKT4_PKT5_llS7_PT6_ll16rocsparse_order_21rocsparse_index_base_b
    .private_segment_fixed_size: 0
    .sgpr_count:     25
    .sgpr_spill_count: 0
    .symbol:         _ZN9rocsparseL29bsrmmnn_small_blockdim_kernelILj64ELj8ELj2Eii21rocsparse_complex_numIfES2_S2_S2_EEv20rocsparse_direction_T3_S4_llNS_24const_host_device_scalarIT7_EEPKT2_PKS4_PKT4_PKT5_llS7_PT6_ll16rocsparse_order_21rocsparse_index_base_b.kd
    .uniform_work_group_size: 1
    .uses_dynamic_stack: false
    .vgpr_count:     56
    .vgpr_spill_count: 0
    .wavefront_size: 32
  - .args:
      - .offset:         0
        .size:           4
        .value_kind:     by_value
      - .offset:         4
        .size:           4
        .value_kind:     by_value
      - .offset:         8
        .size:           4
        .value_kind:     by_value
      - .offset:         16
        .size:           8
        .value_kind:     by_value
      - .offset:         24
        .size:           8
        .value_kind:     by_value
      - .offset:         32
        .size:           8
        .value_kind:     by_value
      - .actual_access:  read_only
        .address_space:  global
        .offset:         40
        .size:           8
        .value_kind:     global_buffer
      - .actual_access:  read_only
        .address_space:  global
        .offset:         48
        .size:           8
        .value_kind:     global_buffer
      - .actual_access:  read_only
        .address_space:  global
        .offset:         56
        .size:           8
        .value_kind:     global_buffer
      - .actual_access:  read_only
        .address_space:  global
        .offset:         64
        .size:           8
        .value_kind:     global_buffer
      - .offset:         72
        .size:           8
        .value_kind:     by_value
      - .offset:         80
        .size:           8
        .value_kind:     by_value
      - .offset:         88
        .size:           8
        .value_kind:     by_value
      - .address_space:  global
        .offset:         96
        .size:           8
        .value_kind:     global_buffer
      - .offset:         104
        .size:           8
        .value_kind:     by_value
      - .offset:         112
        .size:           8
        .value_kind:     by_value
      - .offset:         120
        .size:           4
        .value_kind:     by_value
      - .offset:         124
        .size:           4
        .value_kind:     by_value
      - .offset:         128
        .size:           1
        .value_kind:     by_value
      - .offset:         136
        .size:           4
        .value_kind:     hidden_block_count_x
      - .offset:         140
        .size:           4
        .value_kind:     hidden_block_count_y
      - .offset:         144
        .size:           4
        .value_kind:     hidden_block_count_z
      - .offset:         148
        .size:           2
        .value_kind:     hidden_group_size_x
      - .offset:         150
        .size:           2
        .value_kind:     hidden_group_size_y
      - .offset:         152
        .size:           2
        .value_kind:     hidden_group_size_z
      - .offset:         154
        .size:           2
        .value_kind:     hidden_remainder_x
      - .offset:         156
        .size:           2
        .value_kind:     hidden_remainder_y
      - .offset:         158
        .size:           2
        .value_kind:     hidden_remainder_z
      - .offset:         176
        .size:           8
        .value_kind:     hidden_global_offset_x
      - .offset:         184
        .size:           8
        .value_kind:     hidden_global_offset_y
      - .offset:         192
        .size:           8
        .value_kind:     hidden_global_offset_z
      - .offset:         200
        .size:           2
        .value_kind:     hidden_grid_dims
    .group_segment_fixed_size: 1792
    .kernarg_segment_align: 8
    .kernarg_segment_size: 392
    .language:       OpenCL C
    .language_version:
      - 2
      - 0
    .max_flat_workgroup_size: 64
    .name:           _ZN9rocsparseL29bsrmmnn_small_blockdim_kernelILj64ELj8ELj2Eli21rocsparse_complex_numIfES2_S2_S2_EEv20rocsparse_direction_T3_S4_llNS_24const_host_device_scalarIT7_EEPKT2_PKS4_PKT4_PKT5_llS7_PT6_ll16rocsparse_order_21rocsparse_index_base_b
    .private_segment_fixed_size: 0
    .sgpr_count:     28
    .sgpr_spill_count: 0
    .symbol:         _ZN9rocsparseL29bsrmmnn_small_blockdim_kernelILj64ELj8ELj2Eli21rocsparse_complex_numIfES2_S2_S2_EEv20rocsparse_direction_T3_S4_llNS_24const_host_device_scalarIT7_EEPKT2_PKS4_PKT4_PKT5_llS7_PT6_ll16rocsparse_order_21rocsparse_index_base_b.kd
    .uniform_work_group_size: 1
    .uses_dynamic_stack: false
    .vgpr_count:     62
    .vgpr_spill_count: 0
    .wavefront_size: 32
  - .args:
      - .offset:         0
        .size:           4
        .value_kind:     by_value
      - .offset:         8
        .size:           8
        .value_kind:     by_value
      - .offset:         16
        .size:           8
        .value_kind:     by_value
      - .offset:         24
        .size:           8
        .value_kind:     by_value
      - .offset:         32
        .size:           8
        .value_kind:     by_value
      - .offset:         40
        .size:           8
        .value_kind:     by_value
      - .actual_access:  read_only
        .address_space:  global
        .offset:         48
        .size:           8
        .value_kind:     global_buffer
      - .actual_access:  read_only
        .address_space:  global
        .offset:         56
        .size:           8
        .value_kind:     global_buffer
      - .actual_access:  read_only
        .address_space:  global
        .offset:         64
        .size:           8
        .value_kind:     global_buffer
      - .actual_access:  read_only
        .address_space:  global
        .offset:         72
        .size:           8
        .value_kind:     global_buffer
      - .offset:         80
        .size:           8
        .value_kind:     by_value
      - .offset:         88
        .size:           8
        .value_kind:     by_value
      - .offset:         96
        .size:           8
        .value_kind:     by_value
      - .address_space:  global
        .offset:         104
        .size:           8
        .value_kind:     global_buffer
      - .offset:         112
        .size:           8
        .value_kind:     by_value
      - .offset:         120
        .size:           8
        .value_kind:     by_value
      - .offset:         128
        .size:           4
        .value_kind:     by_value
      - .offset:         132
        .size:           4
        .value_kind:     by_value
      - .offset:         136
        .size:           1
        .value_kind:     by_value
      - .offset:         144
        .size:           4
        .value_kind:     hidden_block_count_x
      - .offset:         148
        .size:           4
        .value_kind:     hidden_block_count_y
      - .offset:         152
        .size:           4
        .value_kind:     hidden_block_count_z
      - .offset:         156
        .size:           2
        .value_kind:     hidden_group_size_x
      - .offset:         158
        .size:           2
        .value_kind:     hidden_group_size_y
      - .offset:         160
        .size:           2
        .value_kind:     hidden_group_size_z
      - .offset:         162
        .size:           2
        .value_kind:     hidden_remainder_x
      - .offset:         164
        .size:           2
        .value_kind:     hidden_remainder_y
      - .offset:         166
        .size:           2
        .value_kind:     hidden_remainder_z
      - .offset:         184
        .size:           8
        .value_kind:     hidden_global_offset_x
      - .offset:         192
        .size:           8
        .value_kind:     hidden_global_offset_y
      - .offset:         200
        .size:           8
        .value_kind:     hidden_global_offset_z
      - .offset:         208
        .size:           2
        .value_kind:     hidden_grid_dims
    .group_segment_fixed_size: 2048
    .kernarg_segment_align: 8
    .kernarg_segment_size: 400
    .language:       OpenCL C
    .language_version:
      - 2
      - 0
    .max_flat_workgroup_size: 64
    .name:           _ZN9rocsparseL29bsrmmnn_small_blockdim_kernelILj64ELj8ELj2Ell21rocsparse_complex_numIfES2_S2_S2_EEv20rocsparse_direction_T3_S4_llNS_24const_host_device_scalarIT7_EEPKT2_PKS4_PKT4_PKT5_llS7_PT6_ll16rocsparse_order_21rocsparse_index_base_b
    .private_segment_fixed_size: 0
    .sgpr_count:     29
    .sgpr_spill_count: 0
    .symbol:         _ZN9rocsparseL29bsrmmnn_small_blockdim_kernelILj64ELj8ELj2Ell21rocsparse_complex_numIfES2_S2_S2_EEv20rocsparse_direction_T3_S4_llNS_24const_host_device_scalarIT7_EEPKT2_PKS4_PKT4_PKT5_llS7_PT6_ll16rocsparse_order_21rocsparse_index_base_b.kd
    .uniform_work_group_size: 1
    .uses_dynamic_stack: false
    .vgpr_count:     78
    .vgpr_spill_count: 0
    .wavefront_size: 32
  - .args:
      - .offset:         0
        .size:           4
        .value_kind:     by_value
      - .offset:         4
        .size:           4
        .value_kind:     by_value
      - .offset:         8
        .size:           4
        .value_kind:     by_value
      - .offset:         16
        .size:           8
        .value_kind:     by_value
      - .offset:         24
        .size:           8
        .value_kind:     by_value
      - .offset:         32
        .size:           16
        .value_kind:     by_value
      - .actual_access:  read_only
        .address_space:  global
        .offset:         48
        .size:           8
        .value_kind:     global_buffer
      - .actual_access:  read_only
        .address_space:  global
        .offset:         56
        .size:           8
        .value_kind:     global_buffer
      - .actual_access:  read_only
        .address_space:  global
        .offset:         64
        .size:           8
        .value_kind:     global_buffer
      - .actual_access:  read_only
        .address_space:  global
        .offset:         72
        .size:           8
        .value_kind:     global_buffer
      - .offset:         80
        .size:           8
        .value_kind:     by_value
      - .offset:         88
        .size:           8
        .value_kind:     by_value
      - .offset:         96
        .size:           16
        .value_kind:     by_value
      - .address_space:  global
        .offset:         112
        .size:           8
        .value_kind:     global_buffer
      - .offset:         120
        .size:           8
        .value_kind:     by_value
      - .offset:         128
        .size:           8
        .value_kind:     by_value
      - .offset:         136
        .size:           4
        .value_kind:     by_value
      - .offset:         140
        .size:           4
        .value_kind:     by_value
      - .offset:         144
        .size:           1
        .value_kind:     by_value
      - .offset:         152
        .size:           4
        .value_kind:     hidden_block_count_x
      - .offset:         156
        .size:           4
        .value_kind:     hidden_block_count_y
      - .offset:         160
        .size:           4
        .value_kind:     hidden_block_count_z
      - .offset:         164
        .size:           2
        .value_kind:     hidden_group_size_x
      - .offset:         166
        .size:           2
        .value_kind:     hidden_group_size_y
      - .offset:         168
        .size:           2
        .value_kind:     hidden_group_size_z
      - .offset:         170
        .size:           2
        .value_kind:     hidden_remainder_x
      - .offset:         172
        .size:           2
        .value_kind:     hidden_remainder_y
      - .offset:         174
        .size:           2
        .value_kind:     hidden_remainder_z
      - .offset:         192
        .size:           8
        .value_kind:     hidden_global_offset_x
      - .offset:         200
        .size:           8
        .value_kind:     hidden_global_offset_y
      - .offset:         208
        .size:           8
        .value_kind:     hidden_global_offset_z
      - .offset:         216
        .size:           2
        .value_kind:     hidden_grid_dims
    .group_segment_fixed_size: 3328
    .kernarg_segment_align: 8
    .kernarg_segment_size: 408
    .language:       OpenCL C
    .language_version:
      - 2
      - 0
    .max_flat_workgroup_size: 64
    .name:           _ZN9rocsparseL29bsrmmnn_small_blockdim_kernelILj64ELj8ELj2Eii21rocsparse_complex_numIdES2_S2_S2_EEv20rocsparse_direction_T3_S4_llNS_24const_host_device_scalarIT7_EEPKT2_PKS4_PKT4_PKT5_llS7_PT6_ll16rocsparse_order_21rocsparse_index_base_b
    .private_segment_fixed_size: 0
    .sgpr_count:     25
    .sgpr_spill_count: 0
    .symbol:         _ZN9rocsparseL29bsrmmnn_small_blockdim_kernelILj64ELj8ELj2Eii21rocsparse_complex_numIdES2_S2_S2_EEv20rocsparse_direction_T3_S4_llNS_24const_host_device_scalarIT7_EEPKT2_PKS4_PKT4_PKT5_llS7_PT6_ll16rocsparse_order_21rocsparse_index_base_b.kd
    .uniform_work_group_size: 1
    .uses_dynamic_stack: false
    .vgpr_count:     72
    .vgpr_spill_count: 0
    .wavefront_size: 32
  - .args:
      - .offset:         0
        .size:           4
        .value_kind:     by_value
      - .offset:         4
        .size:           4
        .value_kind:     by_value
      - .offset:         8
        .size:           4
        .value_kind:     by_value
      - .offset:         16
        .size:           8
        .value_kind:     by_value
      - .offset:         24
        .size:           8
        .value_kind:     by_value
      - .offset:         32
        .size:           16
        .value_kind:     by_value
      - .actual_access:  read_only
        .address_space:  global
        .offset:         48
        .size:           8
        .value_kind:     global_buffer
      - .actual_access:  read_only
        .address_space:  global
        .offset:         56
        .size:           8
        .value_kind:     global_buffer
      - .actual_access:  read_only
        .address_space:  global
        .offset:         64
        .size:           8
        .value_kind:     global_buffer
      - .actual_access:  read_only
        .address_space:  global
        .offset:         72
        .size:           8
        .value_kind:     global_buffer
      - .offset:         80
        .size:           8
        .value_kind:     by_value
      - .offset:         88
        .size:           8
        .value_kind:     by_value
      - .offset:         96
        .size:           16
        .value_kind:     by_value
      - .address_space:  global
        .offset:         112
        .size:           8
        .value_kind:     global_buffer
      - .offset:         120
        .size:           8
        .value_kind:     by_value
      - .offset:         128
        .size:           8
        .value_kind:     by_value
      - .offset:         136
        .size:           4
        .value_kind:     by_value
      - .offset:         140
        .size:           4
        .value_kind:     by_value
      - .offset:         144
        .size:           1
        .value_kind:     by_value
      - .offset:         152
        .size:           4
        .value_kind:     hidden_block_count_x
      - .offset:         156
        .size:           4
        .value_kind:     hidden_block_count_y
      - .offset:         160
        .size:           4
        .value_kind:     hidden_block_count_z
      - .offset:         164
        .size:           2
        .value_kind:     hidden_group_size_x
      - .offset:         166
        .size:           2
        .value_kind:     hidden_group_size_y
      - .offset:         168
        .size:           2
        .value_kind:     hidden_group_size_z
      - .offset:         170
        .size:           2
        .value_kind:     hidden_remainder_x
      - .offset:         172
        .size:           2
        .value_kind:     hidden_remainder_y
      - .offset:         174
        .size:           2
        .value_kind:     hidden_remainder_z
      - .offset:         192
        .size:           8
        .value_kind:     hidden_global_offset_x
      - .offset:         200
        .size:           8
        .value_kind:     hidden_global_offset_y
      - .offset:         208
        .size:           8
        .value_kind:     hidden_global_offset_z
      - .offset:         216
        .size:           2
        .value_kind:     hidden_grid_dims
    .group_segment_fixed_size: 3328
    .kernarg_segment_align: 8
    .kernarg_segment_size: 408
    .language:       OpenCL C
    .language_version:
      - 2
      - 0
    .max_flat_workgroup_size: 64
    .name:           _ZN9rocsparseL29bsrmmnn_small_blockdim_kernelILj64ELj8ELj2Eli21rocsparse_complex_numIdES2_S2_S2_EEv20rocsparse_direction_T3_S4_llNS_24const_host_device_scalarIT7_EEPKT2_PKS4_PKT4_PKT5_llS7_PT6_ll16rocsparse_order_21rocsparse_index_base_b
    .private_segment_fixed_size: 0
    .sgpr_count:     26
    .sgpr_spill_count: 0
    .symbol:         _ZN9rocsparseL29bsrmmnn_small_blockdim_kernelILj64ELj8ELj2Eli21rocsparse_complex_numIdES2_S2_S2_EEv20rocsparse_direction_T3_S4_llNS_24const_host_device_scalarIT7_EEPKT2_PKS4_PKT4_PKT5_llS7_PT6_ll16rocsparse_order_21rocsparse_index_base_b.kd
    .uniform_work_group_size: 1
    .uses_dynamic_stack: false
    .vgpr_count:     78
    .vgpr_spill_count: 0
    .wavefront_size: 32
  - .args:
      - .offset:         0
        .size:           4
        .value_kind:     by_value
      - .offset:         8
        .size:           8
        .value_kind:     by_value
      - .offset:         16
        .size:           8
        .value_kind:     by_value
      - .offset:         24
        .size:           8
        .value_kind:     by_value
      - .offset:         32
        .size:           8
        .value_kind:     by_value
      - .offset:         40
        .size:           16
        .value_kind:     by_value
      - .actual_access:  read_only
        .address_space:  global
        .offset:         56
        .size:           8
        .value_kind:     global_buffer
      - .actual_access:  read_only
        .address_space:  global
        .offset:         64
        .size:           8
        .value_kind:     global_buffer
      - .actual_access:  read_only
        .address_space:  global
        .offset:         72
        .size:           8
        .value_kind:     global_buffer
      - .actual_access:  read_only
        .address_space:  global
        .offset:         80
        .size:           8
        .value_kind:     global_buffer
      - .offset:         88
        .size:           8
        .value_kind:     by_value
      - .offset:         96
        .size:           8
        .value_kind:     by_value
      - .offset:         104
        .size:           16
        .value_kind:     by_value
      - .address_space:  global
        .offset:         120
        .size:           8
        .value_kind:     global_buffer
      - .offset:         128
        .size:           8
        .value_kind:     by_value
      - .offset:         136
        .size:           8
        .value_kind:     by_value
      - .offset:         144
        .size:           4
        .value_kind:     by_value
      - .offset:         148
        .size:           4
        .value_kind:     by_value
      - .offset:         152
        .size:           1
        .value_kind:     by_value
      - .offset:         160
        .size:           4
        .value_kind:     hidden_block_count_x
      - .offset:         164
        .size:           4
        .value_kind:     hidden_block_count_y
      - .offset:         168
        .size:           4
        .value_kind:     hidden_block_count_z
      - .offset:         172
        .size:           2
        .value_kind:     hidden_group_size_x
      - .offset:         174
        .size:           2
        .value_kind:     hidden_group_size_y
      - .offset:         176
        .size:           2
        .value_kind:     hidden_group_size_z
      - .offset:         178
        .size:           2
        .value_kind:     hidden_remainder_x
      - .offset:         180
        .size:           2
        .value_kind:     hidden_remainder_y
      - .offset:         182
        .size:           2
        .value_kind:     hidden_remainder_z
      - .offset:         200
        .size:           8
        .value_kind:     hidden_global_offset_x
      - .offset:         208
        .size:           8
        .value_kind:     hidden_global_offset_y
      - .offset:         216
        .size:           8
        .value_kind:     hidden_global_offset_z
      - .offset:         224
        .size:           2
        .value_kind:     hidden_grid_dims
    .group_segment_fixed_size: 3584
    .kernarg_segment_align: 8
    .kernarg_segment_size: 416
    .language:       OpenCL C
    .language_version:
      - 2
      - 0
    .max_flat_workgroup_size: 64
    .name:           _ZN9rocsparseL29bsrmmnn_small_blockdim_kernelILj64ELj8ELj2Ell21rocsparse_complex_numIdES2_S2_S2_EEv20rocsparse_direction_T3_S4_llNS_24const_host_device_scalarIT7_EEPKT2_PKS4_PKT4_PKT5_llS7_PT6_ll16rocsparse_order_21rocsparse_index_base_b
    .private_segment_fixed_size: 0
    .sgpr_count:     30
    .sgpr_spill_count: 0
    .symbol:         _ZN9rocsparseL29bsrmmnn_small_blockdim_kernelILj64ELj8ELj2Ell21rocsparse_complex_numIdES2_S2_S2_EEv20rocsparse_direction_T3_S4_llNS_24const_host_device_scalarIT7_EEPKT2_PKS4_PKT4_PKT5_llS7_PT6_ll16rocsparse_order_21rocsparse_index_base_b.kd
    .uniform_work_group_size: 1
    .uses_dynamic_stack: false
    .vgpr_count:     80
    .vgpr_spill_count: 0
    .wavefront_size: 32
  - .args:
      - .offset:         0
        .size:           4
        .value_kind:     by_value
      - .offset:         4
        .size:           4
        .value_kind:     by_value
      - .offset:         8
        .size:           4
        .value_kind:     by_value
      - .offset:         16
        .size:           8
        .value_kind:     by_value
      - .offset:         24
        .size:           8
        .value_kind:     by_value
      - .offset:         32
        .size:           8
        .value_kind:     by_value
      - .actual_access:  read_only
        .address_space:  global
        .offset:         40
        .size:           8
        .value_kind:     global_buffer
      - .actual_access:  read_only
        .address_space:  global
        .offset:         48
        .size:           8
        .value_kind:     global_buffer
      - .actual_access:  read_only
        .address_space:  global
        .offset:         56
        .size:           8
        .value_kind:     global_buffer
      - .actual_access:  read_only
        .address_space:  global
        .offset:         64
        .size:           8
        .value_kind:     global_buffer
      - .offset:         72
        .size:           8
        .value_kind:     by_value
      - .offset:         80
        .size:           8
        .value_kind:     by_value
      - .offset:         88
        .size:           8
        .value_kind:     by_value
      - .address_space:  global
        .offset:         96
        .size:           8
        .value_kind:     global_buffer
      - .offset:         104
        .size:           8
        .value_kind:     by_value
      - .offset:         112
        .size:           8
        .value_kind:     by_value
      - .offset:         120
        .size:           4
        .value_kind:     by_value
      - .offset:         124
        .size:           4
        .value_kind:     by_value
      - .offset:         128
        .size:           1
        .value_kind:     by_value
      - .offset:         136
        .size:           4
        .value_kind:     hidden_block_count_x
      - .offset:         140
        .size:           4
        .value_kind:     hidden_block_count_y
      - .offset:         144
        .size:           4
        .value_kind:     hidden_block_count_z
      - .offset:         148
        .size:           2
        .value_kind:     hidden_group_size_x
      - .offset:         150
        .size:           2
        .value_kind:     hidden_group_size_y
      - .offset:         152
        .size:           2
        .value_kind:     hidden_group_size_z
      - .offset:         154
        .size:           2
        .value_kind:     hidden_remainder_x
      - .offset:         156
        .size:           2
        .value_kind:     hidden_remainder_y
      - .offset:         158
        .size:           2
        .value_kind:     hidden_remainder_z
      - .offset:         176
        .size:           8
        .value_kind:     hidden_global_offset_x
      - .offset:         184
        .size:           8
        .value_kind:     hidden_global_offset_y
      - .offset:         192
        .size:           8
        .value_kind:     hidden_global_offset_z
      - .offset:         200
        .size:           2
        .value_kind:     hidden_grid_dims
    .group_segment_fixed_size: 640
    .kernarg_segment_align: 8
    .kernarg_segment_size: 392
    .language:       OpenCL C
    .language_version:
      - 2
      - 0
    .max_flat_workgroup_size: 64
    .name:           _ZN9rocsparseL29bsrmmnn_small_blockdim_kernelILj64ELj8ELj2EiiDF16_DF16_ffEEv20rocsparse_direction_T3_S2_llNS_24const_host_device_scalarIT7_EEPKT2_PKS2_PKT4_PKT5_llS5_PT6_ll16rocsparse_order_21rocsparse_index_base_b
    .private_segment_fixed_size: 0
    .sgpr_count:     28
    .sgpr_spill_count: 0
    .symbol:         _ZN9rocsparseL29bsrmmnn_small_blockdim_kernelILj64ELj8ELj2EiiDF16_DF16_ffEEv20rocsparse_direction_T3_S2_llNS_24const_host_device_scalarIT7_EEPKT2_PKS2_PKT4_PKT5_llS5_PT6_ll16rocsparse_order_21rocsparse_index_base_b.kd
    .uniform_work_group_size: 1
    .uses_dynamic_stack: false
    .vgpr_count:     38
    .vgpr_spill_count: 0
    .wavefront_size: 32
  - .args:
      - .offset:         0
        .size:           4
        .value_kind:     by_value
      - .offset:         4
        .size:           4
        .value_kind:     by_value
      - .offset:         8
        .size:           4
        .value_kind:     by_value
      - .offset:         16
        .size:           8
        .value_kind:     by_value
      - .offset:         24
        .size:           8
        .value_kind:     by_value
      - .offset:         32
        .size:           8
        .value_kind:     by_value
      - .actual_access:  read_only
        .address_space:  global
        .offset:         40
        .size:           8
        .value_kind:     global_buffer
      - .actual_access:  read_only
        .address_space:  global
        .offset:         48
        .size:           8
        .value_kind:     global_buffer
      - .actual_access:  read_only
        .address_space:  global
        .offset:         56
        .size:           8
        .value_kind:     global_buffer
      - .actual_access:  read_only
        .address_space:  global
        .offset:         64
        .size:           8
        .value_kind:     global_buffer
      - .offset:         72
        .size:           8
        .value_kind:     by_value
      - .offset:         80
        .size:           8
        .value_kind:     by_value
      - .offset:         88
        .size:           8
        .value_kind:     by_value
      - .address_space:  global
        .offset:         96
        .size:           8
        .value_kind:     global_buffer
      - .offset:         104
        .size:           8
        .value_kind:     by_value
      - .offset:         112
        .size:           8
        .value_kind:     by_value
      - .offset:         120
        .size:           4
        .value_kind:     by_value
      - .offset:         124
        .size:           4
        .value_kind:     by_value
      - .offset:         128
        .size:           1
        .value_kind:     by_value
      - .offset:         136
        .size:           4
        .value_kind:     hidden_block_count_x
      - .offset:         140
        .size:           4
        .value_kind:     hidden_block_count_y
      - .offset:         144
        .size:           4
        .value_kind:     hidden_block_count_z
      - .offset:         148
        .size:           2
        .value_kind:     hidden_group_size_x
      - .offset:         150
        .size:           2
        .value_kind:     hidden_group_size_y
      - .offset:         152
        .size:           2
        .value_kind:     hidden_group_size_z
      - .offset:         154
        .size:           2
        .value_kind:     hidden_remainder_x
      - .offset:         156
        .size:           2
        .value_kind:     hidden_remainder_y
      - .offset:         158
        .size:           2
        .value_kind:     hidden_remainder_z
      - .offset:         176
        .size:           8
        .value_kind:     hidden_global_offset_x
      - .offset:         184
        .size:           8
        .value_kind:     hidden_global_offset_y
      - .offset:         192
        .size:           8
        .value_kind:     hidden_global_offset_z
      - .offset:         200
        .size:           2
        .value_kind:     hidden_grid_dims
    .group_segment_fixed_size: 640
    .kernarg_segment_align: 8
    .kernarg_segment_size: 392
    .language:       OpenCL C
    .language_version:
      - 2
      - 0
    .max_flat_workgroup_size: 64
    .name:           _ZN9rocsparseL29bsrmmnn_small_blockdim_kernelILj64ELj8ELj2EliDF16_DF16_ffEEv20rocsparse_direction_T3_S2_llNS_24const_host_device_scalarIT7_EEPKT2_PKS2_PKT4_PKT5_llS5_PT6_ll16rocsparse_order_21rocsparse_index_base_b
    .private_segment_fixed_size: 0
    .sgpr_count:     28
    .sgpr_spill_count: 0
    .symbol:         _ZN9rocsparseL29bsrmmnn_small_blockdim_kernelILj64ELj8ELj2EliDF16_DF16_ffEEv20rocsparse_direction_T3_S2_llNS_24const_host_device_scalarIT7_EEPKT2_PKS2_PKT4_PKT5_llS5_PT6_ll16rocsparse_order_21rocsparse_index_base_b.kd
    .uniform_work_group_size: 1
    .uses_dynamic_stack: false
    .vgpr_count:     44
    .vgpr_spill_count: 0
    .wavefront_size: 32
  - .args:
      - .offset:         0
        .size:           4
        .value_kind:     by_value
      - .offset:         8
        .size:           8
        .value_kind:     by_value
      - .offset:         16
        .size:           8
        .value_kind:     by_value
      - .offset:         24
        .size:           8
        .value_kind:     by_value
      - .offset:         32
        .size:           8
        .value_kind:     by_value
      - .offset:         40
        .size:           8
        .value_kind:     by_value
      - .actual_access:  read_only
        .address_space:  global
        .offset:         48
        .size:           8
        .value_kind:     global_buffer
      - .actual_access:  read_only
        .address_space:  global
        .offset:         56
        .size:           8
        .value_kind:     global_buffer
      - .actual_access:  read_only
        .address_space:  global
        .offset:         64
        .size:           8
        .value_kind:     global_buffer
      - .actual_access:  read_only
        .address_space:  global
        .offset:         72
        .size:           8
        .value_kind:     global_buffer
      - .offset:         80
        .size:           8
        .value_kind:     by_value
      - .offset:         88
        .size:           8
        .value_kind:     by_value
      - .offset:         96
        .size:           8
        .value_kind:     by_value
      - .address_space:  global
        .offset:         104
        .size:           8
        .value_kind:     global_buffer
      - .offset:         112
        .size:           8
        .value_kind:     by_value
      - .offset:         120
        .size:           8
        .value_kind:     by_value
      - .offset:         128
        .size:           4
        .value_kind:     by_value
      - .offset:         132
        .size:           4
        .value_kind:     by_value
      - .offset:         136
        .size:           1
        .value_kind:     by_value
      - .offset:         144
        .size:           4
        .value_kind:     hidden_block_count_x
      - .offset:         148
        .size:           4
        .value_kind:     hidden_block_count_y
      - .offset:         152
        .size:           4
        .value_kind:     hidden_block_count_z
      - .offset:         156
        .size:           2
        .value_kind:     hidden_group_size_x
      - .offset:         158
        .size:           2
        .value_kind:     hidden_group_size_y
      - .offset:         160
        .size:           2
        .value_kind:     hidden_group_size_z
      - .offset:         162
        .size:           2
        .value_kind:     hidden_remainder_x
      - .offset:         164
        .size:           2
        .value_kind:     hidden_remainder_y
      - .offset:         166
        .size:           2
        .value_kind:     hidden_remainder_z
      - .offset:         184
        .size:           8
        .value_kind:     hidden_global_offset_x
      - .offset:         192
        .size:           8
        .value_kind:     hidden_global_offset_y
      - .offset:         200
        .size:           8
        .value_kind:     hidden_global_offset_z
      - .offset:         208
        .size:           2
        .value_kind:     hidden_grid_dims
    .group_segment_fixed_size: 896
    .kernarg_segment_align: 8
    .kernarg_segment_size: 400
    .language:       OpenCL C
    .language_version:
      - 2
      - 0
    .max_flat_workgroup_size: 64
    .name:           _ZN9rocsparseL29bsrmmnn_small_blockdim_kernelILj64ELj8ELj2EllDF16_DF16_ffEEv20rocsparse_direction_T3_S2_llNS_24const_host_device_scalarIT7_EEPKT2_PKS2_PKT4_PKT5_llS5_PT6_ll16rocsparse_order_21rocsparse_index_base_b
    .private_segment_fixed_size: 0
    .sgpr_count:     31
    .sgpr_spill_count: 0
    .symbol:         _ZN9rocsparseL29bsrmmnn_small_blockdim_kernelILj64ELj8ELj2EllDF16_DF16_ffEEv20rocsparse_direction_T3_S2_llNS_24const_host_device_scalarIT7_EEPKT2_PKS2_PKT4_PKT5_llS5_PT6_ll16rocsparse_order_21rocsparse_index_base_b.kd
    .uniform_work_group_size: 1
    .uses_dynamic_stack: false
    .vgpr_count:     45
    .vgpr_spill_count: 0
    .wavefront_size: 32
  - .args:
      - .offset:         0
        .size:           4
        .value_kind:     by_value
      - .offset:         4
        .size:           4
        .value_kind:     by_value
      - .offset:         8
        .size:           4
        .value_kind:     by_value
      - .offset:         16
        .size:           8
        .value_kind:     by_value
      - .offset:         24
        .size:           8
        .value_kind:     by_value
      - .offset:         32
        .size:           8
        .value_kind:     by_value
      - .actual_access:  read_only
        .address_space:  global
        .offset:         40
        .size:           8
        .value_kind:     global_buffer
      - .actual_access:  read_only
        .address_space:  global
        .offset:         48
        .size:           8
        .value_kind:     global_buffer
      - .actual_access:  read_only
        .address_space:  global
        .offset:         56
        .size:           8
        .value_kind:     global_buffer
      - .actual_access:  read_only
        .address_space:  global
        .offset:         64
        .size:           8
        .value_kind:     global_buffer
      - .offset:         72
        .size:           8
        .value_kind:     by_value
      - .offset:         80
        .size:           8
        .value_kind:     by_value
      - .offset:         88
        .size:           8
        .value_kind:     by_value
      - .address_space:  global
        .offset:         96
        .size:           8
        .value_kind:     global_buffer
      - .offset:         104
        .size:           8
        .value_kind:     by_value
      - .offset:         112
        .size:           8
        .value_kind:     by_value
      - .offset:         120
        .size:           4
        .value_kind:     by_value
      - .offset:         124
        .size:           4
        .value_kind:     by_value
      - .offset:         128
        .size:           1
        .value_kind:     by_value
      - .offset:         136
        .size:           4
        .value_kind:     hidden_block_count_x
      - .offset:         140
        .size:           4
        .value_kind:     hidden_block_count_y
      - .offset:         144
        .size:           4
        .value_kind:     hidden_block_count_z
      - .offset:         148
        .size:           2
        .value_kind:     hidden_group_size_x
      - .offset:         150
        .size:           2
        .value_kind:     hidden_group_size_y
      - .offset:         152
        .size:           2
        .value_kind:     hidden_group_size_z
      - .offset:         154
        .size:           2
        .value_kind:     hidden_remainder_x
      - .offset:         156
        .size:           2
        .value_kind:     hidden_remainder_y
      - .offset:         158
        .size:           2
        .value_kind:     hidden_remainder_z
      - .offset:         176
        .size:           8
        .value_kind:     hidden_global_offset_x
      - .offset:         184
        .size:           8
        .value_kind:     hidden_global_offset_y
      - .offset:         192
        .size:           8
        .value_kind:     hidden_global_offset_z
      - .offset:         200
        .size:           2
        .value_kind:     hidden_grid_dims
    .group_segment_fixed_size: 448
    .kernarg_segment_align: 8
    .kernarg_segment_size: 392
    .language:       OpenCL C
    .language_version:
      - 2
      - 0
    .max_flat_workgroup_size: 64
    .name:           _ZN9rocsparseL29bsrmmnn_small_blockdim_kernelILj64ELj8ELj2EiiaaiiEEv20rocsparse_direction_T3_S2_llNS_24const_host_device_scalarIT7_EEPKT2_PKS2_PKT4_PKT5_llS5_PT6_ll16rocsparse_order_21rocsparse_index_base_b
    .private_segment_fixed_size: 0
    .sgpr_count:     25
    .sgpr_spill_count: 0
    .symbol:         _ZN9rocsparseL29bsrmmnn_small_blockdim_kernelILj64ELj8ELj2EiiaaiiEEv20rocsparse_direction_T3_S2_llNS_24const_host_device_scalarIT7_EEPKT2_PKS2_PKT4_PKT5_llS5_PT6_ll16rocsparse_order_21rocsparse_index_base_b.kd
    .uniform_work_group_size: 1
    .uses_dynamic_stack: false
    .vgpr_count:     41
    .vgpr_spill_count: 0
    .wavefront_size: 32
  - .args:
      - .offset:         0
        .size:           4
        .value_kind:     by_value
      - .offset:         4
        .size:           4
        .value_kind:     by_value
      - .offset:         8
        .size:           4
        .value_kind:     by_value
      - .offset:         16
        .size:           8
        .value_kind:     by_value
      - .offset:         24
        .size:           8
        .value_kind:     by_value
      - .offset:         32
        .size:           8
        .value_kind:     by_value
      - .actual_access:  read_only
        .address_space:  global
        .offset:         40
        .size:           8
        .value_kind:     global_buffer
      - .actual_access:  read_only
        .address_space:  global
        .offset:         48
        .size:           8
        .value_kind:     global_buffer
      - .actual_access:  read_only
        .address_space:  global
        .offset:         56
        .size:           8
        .value_kind:     global_buffer
      - .actual_access:  read_only
        .address_space:  global
        .offset:         64
        .size:           8
        .value_kind:     global_buffer
      - .offset:         72
        .size:           8
        .value_kind:     by_value
      - .offset:         80
        .size:           8
        .value_kind:     by_value
      - .offset:         88
        .size:           8
        .value_kind:     by_value
      - .address_space:  global
        .offset:         96
        .size:           8
        .value_kind:     global_buffer
      - .offset:         104
        .size:           8
        .value_kind:     by_value
      - .offset:         112
        .size:           8
        .value_kind:     by_value
      - .offset:         120
        .size:           4
        .value_kind:     by_value
      - .offset:         124
        .size:           4
        .value_kind:     by_value
      - .offset:         128
        .size:           1
        .value_kind:     by_value
      - .offset:         136
        .size:           4
        .value_kind:     hidden_block_count_x
      - .offset:         140
        .size:           4
        .value_kind:     hidden_block_count_y
      - .offset:         144
        .size:           4
        .value_kind:     hidden_block_count_z
      - .offset:         148
        .size:           2
        .value_kind:     hidden_group_size_x
      - .offset:         150
        .size:           2
        .value_kind:     hidden_group_size_y
      - .offset:         152
        .size:           2
        .value_kind:     hidden_group_size_z
      - .offset:         154
        .size:           2
        .value_kind:     hidden_remainder_x
      - .offset:         156
        .size:           2
        .value_kind:     hidden_remainder_y
      - .offset:         158
        .size:           2
        .value_kind:     hidden_remainder_z
      - .offset:         176
        .size:           8
        .value_kind:     hidden_global_offset_x
      - .offset:         184
        .size:           8
        .value_kind:     hidden_global_offset_y
      - .offset:         192
        .size:           8
        .value_kind:     hidden_global_offset_z
      - .offset:         200
        .size:           2
        .value_kind:     hidden_grid_dims
    .group_segment_fixed_size: 448
    .kernarg_segment_align: 8
    .kernarg_segment_size: 392
    .language:       OpenCL C
    .language_version:
      - 2
      - 0
    .max_flat_workgroup_size: 64
    .name:           _ZN9rocsparseL29bsrmmnn_small_blockdim_kernelILj64ELj8ELj2EliaaiiEEv20rocsparse_direction_T3_S2_llNS_24const_host_device_scalarIT7_EEPKT2_PKS2_PKT4_PKT5_llS5_PT6_ll16rocsparse_order_21rocsparse_index_base_b
    .private_segment_fixed_size: 0
    .sgpr_count:     28
    .sgpr_spill_count: 0
    .symbol:         _ZN9rocsparseL29bsrmmnn_small_blockdim_kernelILj64ELj8ELj2EliaaiiEEv20rocsparse_direction_T3_S2_llNS_24const_host_device_scalarIT7_EEPKT2_PKS2_PKT4_PKT5_llS5_PT6_ll16rocsparse_order_21rocsparse_index_base_b.kd
    .uniform_work_group_size: 1
    .uses_dynamic_stack: false
    .vgpr_count:     47
    .vgpr_spill_count: 0
    .wavefront_size: 32
  - .args:
      - .offset:         0
        .size:           4
        .value_kind:     by_value
      - .offset:         8
        .size:           8
        .value_kind:     by_value
      - .offset:         16
        .size:           8
        .value_kind:     by_value
      - .offset:         24
        .size:           8
        .value_kind:     by_value
      - .offset:         32
        .size:           8
        .value_kind:     by_value
      - .offset:         40
        .size:           8
        .value_kind:     by_value
      - .actual_access:  read_only
        .address_space:  global
        .offset:         48
        .size:           8
        .value_kind:     global_buffer
      - .actual_access:  read_only
        .address_space:  global
        .offset:         56
        .size:           8
        .value_kind:     global_buffer
      - .actual_access:  read_only
        .address_space:  global
        .offset:         64
        .size:           8
        .value_kind:     global_buffer
      - .actual_access:  read_only
        .address_space:  global
        .offset:         72
        .size:           8
        .value_kind:     global_buffer
      - .offset:         80
        .size:           8
        .value_kind:     by_value
      - .offset:         88
        .size:           8
        .value_kind:     by_value
      - .offset:         96
        .size:           8
        .value_kind:     by_value
      - .address_space:  global
        .offset:         104
        .size:           8
        .value_kind:     global_buffer
      - .offset:         112
        .size:           8
        .value_kind:     by_value
      - .offset:         120
        .size:           8
        .value_kind:     by_value
      - .offset:         128
        .size:           4
        .value_kind:     by_value
      - .offset:         132
        .size:           4
        .value_kind:     by_value
      - .offset:         136
        .size:           1
        .value_kind:     by_value
      - .offset:         144
        .size:           4
        .value_kind:     hidden_block_count_x
      - .offset:         148
        .size:           4
        .value_kind:     hidden_block_count_y
      - .offset:         152
        .size:           4
        .value_kind:     hidden_block_count_z
      - .offset:         156
        .size:           2
        .value_kind:     hidden_group_size_x
      - .offset:         158
        .size:           2
        .value_kind:     hidden_group_size_y
      - .offset:         160
        .size:           2
        .value_kind:     hidden_group_size_z
      - .offset:         162
        .size:           2
        .value_kind:     hidden_remainder_x
      - .offset:         164
        .size:           2
        .value_kind:     hidden_remainder_y
      - .offset:         166
        .size:           2
        .value_kind:     hidden_remainder_z
      - .offset:         184
        .size:           8
        .value_kind:     hidden_global_offset_x
      - .offset:         192
        .size:           8
        .value_kind:     hidden_global_offset_y
      - .offset:         200
        .size:           8
        .value_kind:     hidden_global_offset_z
      - .offset:         208
        .size:           2
        .value_kind:     hidden_grid_dims
    .group_segment_fixed_size: 704
    .kernarg_segment_align: 8
    .kernarg_segment_size: 400
    .language:       OpenCL C
    .language_version:
      - 2
      - 0
    .max_flat_workgroup_size: 64
    .name:           _ZN9rocsparseL29bsrmmnn_small_blockdim_kernelILj64ELj8ELj2EllaaiiEEv20rocsparse_direction_T3_S2_llNS_24const_host_device_scalarIT7_EEPKT2_PKS2_PKT4_PKT5_llS5_PT6_ll16rocsparse_order_21rocsparse_index_base_b
    .private_segment_fixed_size: 0
    .sgpr_count:     29
    .sgpr_spill_count: 0
    .symbol:         _ZN9rocsparseL29bsrmmnn_small_blockdim_kernelILj64ELj8ELj2EllaaiiEEv20rocsparse_direction_T3_S2_llNS_24const_host_device_scalarIT7_EEPKT2_PKS2_PKT4_PKT5_llS5_PT6_ll16rocsparse_order_21rocsparse_index_base_b.kd
    .uniform_work_group_size: 1
    .uses_dynamic_stack: false
    .vgpr_count:     51
    .vgpr_spill_count: 0
    .wavefront_size: 32
  - .args:
      - .offset:         0
        .size:           4
        .value_kind:     by_value
      - .offset:         4
        .size:           4
        .value_kind:     by_value
      - .offset:         8
        .size:           4
        .value_kind:     by_value
      - .offset:         16
        .size:           8
        .value_kind:     by_value
      - .offset:         24
        .size:           8
        .value_kind:     by_value
      - .offset:         32
        .size:           8
        .value_kind:     by_value
      - .actual_access:  read_only
        .address_space:  global
        .offset:         40
        .size:           8
        .value_kind:     global_buffer
      - .actual_access:  read_only
        .address_space:  global
        .offset:         48
        .size:           8
        .value_kind:     global_buffer
      - .actual_access:  read_only
        .address_space:  global
        .offset:         56
        .size:           8
        .value_kind:     global_buffer
      - .actual_access:  read_only
        .address_space:  global
        .offset:         64
        .size:           8
        .value_kind:     global_buffer
      - .offset:         72
        .size:           8
        .value_kind:     by_value
      - .offset:         80
        .size:           8
        .value_kind:     by_value
      - .offset:         88
        .size:           8
        .value_kind:     by_value
      - .address_space:  global
        .offset:         96
        .size:           8
        .value_kind:     global_buffer
      - .offset:         104
        .size:           8
        .value_kind:     by_value
      - .offset:         112
        .size:           8
        .value_kind:     by_value
      - .offset:         120
        .size:           4
        .value_kind:     by_value
      - .offset:         124
        .size:           4
        .value_kind:     by_value
      - .offset:         128
        .size:           1
        .value_kind:     by_value
      - .offset:         136
        .size:           4
        .value_kind:     hidden_block_count_x
      - .offset:         140
        .size:           4
        .value_kind:     hidden_block_count_y
      - .offset:         144
        .size:           4
        .value_kind:     hidden_block_count_z
      - .offset:         148
        .size:           2
        .value_kind:     hidden_group_size_x
      - .offset:         150
        .size:           2
        .value_kind:     hidden_group_size_y
      - .offset:         152
        .size:           2
        .value_kind:     hidden_group_size_z
      - .offset:         154
        .size:           2
        .value_kind:     hidden_remainder_x
      - .offset:         156
        .size:           2
        .value_kind:     hidden_remainder_y
      - .offset:         158
        .size:           2
        .value_kind:     hidden_remainder_z
      - .offset:         176
        .size:           8
        .value_kind:     hidden_global_offset_x
      - .offset:         184
        .size:           8
        .value_kind:     hidden_global_offset_y
      - .offset:         192
        .size:           8
        .value_kind:     hidden_global_offset_z
      - .offset:         200
        .size:           2
        .value_kind:     hidden_grid_dims
    .group_segment_fixed_size: 448
    .kernarg_segment_align: 8
    .kernarg_segment_size: 392
    .language:       OpenCL C
    .language_version:
      - 2
      - 0
    .max_flat_workgroup_size: 64
    .name:           _ZN9rocsparseL29bsrmmnn_small_blockdim_kernelILj64ELj8ELj2EiiaaffEEv20rocsparse_direction_T3_S2_llNS_24const_host_device_scalarIT7_EEPKT2_PKS2_PKT4_PKT5_llS5_PT6_ll16rocsparse_order_21rocsparse_index_base_b
    .private_segment_fixed_size: 0
    .sgpr_count:     28
    .sgpr_spill_count: 0
    .symbol:         _ZN9rocsparseL29bsrmmnn_small_blockdim_kernelILj64ELj8ELj2EiiaaffEEv20rocsparse_direction_T3_S2_llNS_24const_host_device_scalarIT7_EEPKT2_PKS2_PKT4_PKT5_llS5_PT6_ll16rocsparse_order_21rocsparse_index_base_b.kd
    .uniform_work_group_size: 1
    .uses_dynamic_stack: false
    .vgpr_count:     47
    .vgpr_spill_count: 0
    .wavefront_size: 32
  - .args:
      - .offset:         0
        .size:           4
        .value_kind:     by_value
      - .offset:         4
        .size:           4
        .value_kind:     by_value
      - .offset:         8
        .size:           4
        .value_kind:     by_value
      - .offset:         16
        .size:           8
        .value_kind:     by_value
      - .offset:         24
        .size:           8
        .value_kind:     by_value
      - .offset:         32
        .size:           8
        .value_kind:     by_value
      - .actual_access:  read_only
        .address_space:  global
        .offset:         40
        .size:           8
        .value_kind:     global_buffer
      - .actual_access:  read_only
        .address_space:  global
        .offset:         48
        .size:           8
        .value_kind:     global_buffer
      - .actual_access:  read_only
        .address_space:  global
        .offset:         56
        .size:           8
        .value_kind:     global_buffer
      - .actual_access:  read_only
        .address_space:  global
        .offset:         64
        .size:           8
        .value_kind:     global_buffer
      - .offset:         72
        .size:           8
        .value_kind:     by_value
      - .offset:         80
        .size:           8
        .value_kind:     by_value
      - .offset:         88
        .size:           8
        .value_kind:     by_value
      - .address_space:  global
        .offset:         96
        .size:           8
        .value_kind:     global_buffer
      - .offset:         104
        .size:           8
        .value_kind:     by_value
      - .offset:         112
        .size:           8
        .value_kind:     by_value
      - .offset:         120
        .size:           4
        .value_kind:     by_value
      - .offset:         124
        .size:           4
        .value_kind:     by_value
      - .offset:         128
        .size:           1
        .value_kind:     by_value
      - .offset:         136
        .size:           4
        .value_kind:     hidden_block_count_x
      - .offset:         140
        .size:           4
        .value_kind:     hidden_block_count_y
      - .offset:         144
        .size:           4
        .value_kind:     hidden_block_count_z
      - .offset:         148
        .size:           2
        .value_kind:     hidden_group_size_x
      - .offset:         150
        .size:           2
        .value_kind:     hidden_group_size_y
      - .offset:         152
        .size:           2
        .value_kind:     hidden_group_size_z
      - .offset:         154
        .size:           2
        .value_kind:     hidden_remainder_x
      - .offset:         156
        .size:           2
        .value_kind:     hidden_remainder_y
      - .offset:         158
        .size:           2
        .value_kind:     hidden_remainder_z
      - .offset:         176
        .size:           8
        .value_kind:     hidden_global_offset_x
      - .offset:         184
        .size:           8
        .value_kind:     hidden_global_offset_y
      - .offset:         192
        .size:           8
        .value_kind:     hidden_global_offset_z
      - .offset:         200
        .size:           2
        .value_kind:     hidden_grid_dims
    .group_segment_fixed_size: 448
    .kernarg_segment_align: 8
    .kernarg_segment_size: 392
    .language:       OpenCL C
    .language_version:
      - 2
      - 0
    .max_flat_workgroup_size: 64
    .name:           _ZN9rocsparseL29bsrmmnn_small_blockdim_kernelILj64ELj8ELj2EliaaffEEv20rocsparse_direction_T3_S2_llNS_24const_host_device_scalarIT7_EEPKT2_PKS2_PKT4_PKT5_llS5_PT6_ll16rocsparse_order_21rocsparse_index_base_b
    .private_segment_fixed_size: 0
    .sgpr_count:     28
    .sgpr_spill_count: 0
    .symbol:         _ZN9rocsparseL29bsrmmnn_small_blockdim_kernelILj64ELj8ELj2EliaaffEEv20rocsparse_direction_T3_S2_llNS_24const_host_device_scalarIT7_EEPKT2_PKS2_PKT4_PKT5_llS5_PT6_ll16rocsparse_order_21rocsparse_index_base_b.kd
    .uniform_work_group_size: 1
    .uses_dynamic_stack: false
    .vgpr_count:     53
    .vgpr_spill_count: 0
    .wavefront_size: 32
  - .args:
      - .offset:         0
        .size:           4
        .value_kind:     by_value
      - .offset:         8
        .size:           8
        .value_kind:     by_value
      - .offset:         16
        .size:           8
        .value_kind:     by_value
      - .offset:         24
        .size:           8
        .value_kind:     by_value
      - .offset:         32
        .size:           8
        .value_kind:     by_value
      - .offset:         40
        .size:           8
        .value_kind:     by_value
      - .actual_access:  read_only
        .address_space:  global
        .offset:         48
        .size:           8
        .value_kind:     global_buffer
      - .actual_access:  read_only
        .address_space:  global
        .offset:         56
        .size:           8
        .value_kind:     global_buffer
      - .actual_access:  read_only
        .address_space:  global
        .offset:         64
        .size:           8
        .value_kind:     global_buffer
      - .actual_access:  read_only
        .address_space:  global
        .offset:         72
        .size:           8
        .value_kind:     global_buffer
      - .offset:         80
        .size:           8
        .value_kind:     by_value
      - .offset:         88
        .size:           8
        .value_kind:     by_value
      - .offset:         96
        .size:           8
        .value_kind:     by_value
      - .address_space:  global
        .offset:         104
        .size:           8
        .value_kind:     global_buffer
      - .offset:         112
        .size:           8
        .value_kind:     by_value
      - .offset:         120
        .size:           8
        .value_kind:     by_value
      - .offset:         128
        .size:           4
        .value_kind:     by_value
      - .offset:         132
        .size:           4
        .value_kind:     by_value
      - .offset:         136
        .size:           1
        .value_kind:     by_value
      - .offset:         144
        .size:           4
        .value_kind:     hidden_block_count_x
      - .offset:         148
        .size:           4
        .value_kind:     hidden_block_count_y
      - .offset:         152
        .size:           4
        .value_kind:     hidden_block_count_z
      - .offset:         156
        .size:           2
        .value_kind:     hidden_group_size_x
      - .offset:         158
        .size:           2
        .value_kind:     hidden_group_size_y
      - .offset:         160
        .size:           2
        .value_kind:     hidden_group_size_z
      - .offset:         162
        .size:           2
        .value_kind:     hidden_remainder_x
      - .offset:         164
        .size:           2
        .value_kind:     hidden_remainder_y
      - .offset:         166
        .size:           2
        .value_kind:     hidden_remainder_z
      - .offset:         184
        .size:           8
        .value_kind:     hidden_global_offset_x
      - .offset:         192
        .size:           8
        .value_kind:     hidden_global_offset_y
      - .offset:         200
        .size:           8
        .value_kind:     hidden_global_offset_z
      - .offset:         208
        .size:           2
        .value_kind:     hidden_grid_dims
    .group_segment_fixed_size: 704
    .kernarg_segment_align: 8
    .kernarg_segment_size: 400
    .language:       OpenCL C
    .language_version:
      - 2
      - 0
    .max_flat_workgroup_size: 64
    .name:           _ZN9rocsparseL29bsrmmnn_small_blockdim_kernelILj64ELj8ELj2EllaaffEEv20rocsparse_direction_T3_S2_llNS_24const_host_device_scalarIT7_EEPKT2_PKS2_PKT4_PKT5_llS5_PT6_ll16rocsparse_order_21rocsparse_index_base_b
    .private_segment_fixed_size: 0
    .sgpr_count:     30
    .sgpr_spill_count: 0
    .symbol:         _ZN9rocsparseL29bsrmmnn_small_blockdim_kernelILj64ELj8ELj2EllaaffEEv20rocsparse_direction_T3_S2_llNS_24const_host_device_scalarIT7_EEPKT2_PKS2_PKT4_PKT5_llS5_PT6_ll16rocsparse_order_21rocsparse_index_base_b.kd
    .uniform_work_group_size: 1
    .uses_dynamic_stack: false
    .vgpr_count:     53
    .vgpr_spill_count: 0
    .wavefront_size: 32
  - .args:
      - .offset:         0
        .size:           4
        .value_kind:     by_value
      - .offset:         4
        .size:           4
        .value_kind:     by_value
      - .offset:         8
        .size:           4
        .value_kind:     by_value
      - .offset:         16
        .size:           8
        .value_kind:     by_value
      - .offset:         24
        .size:           8
        .value_kind:     by_value
      - .offset:         32
        .size:           8
        .value_kind:     by_value
      - .actual_access:  read_only
        .address_space:  global
        .offset:         40
        .size:           8
        .value_kind:     global_buffer
      - .actual_access:  read_only
        .address_space:  global
        .offset:         48
        .size:           8
        .value_kind:     global_buffer
      - .actual_access:  read_only
        .address_space:  global
        .offset:         56
        .size:           8
        .value_kind:     global_buffer
      - .actual_access:  read_only
        .address_space:  global
        .offset:         64
        .size:           8
        .value_kind:     global_buffer
      - .offset:         72
        .size:           8
        .value_kind:     by_value
      - .offset:         80
        .size:           8
        .value_kind:     by_value
      - .offset:         88
        .size:           8
        .value_kind:     by_value
      - .address_space:  global
        .offset:         96
        .size:           8
        .value_kind:     global_buffer
      - .offset:         104
        .size:           8
        .value_kind:     by_value
      - .offset:         112
        .size:           8
        .value_kind:     by_value
      - .offset:         120
        .size:           4
        .value_kind:     by_value
      - .offset:         124
        .size:           4
        .value_kind:     by_value
      - .offset:         128
        .size:           1
        .value_kind:     by_value
      - .offset:         136
        .size:           4
        .value_kind:     hidden_block_count_x
      - .offset:         140
        .size:           4
        .value_kind:     hidden_block_count_y
      - .offset:         144
        .size:           4
        .value_kind:     hidden_block_count_z
      - .offset:         148
        .size:           2
        .value_kind:     hidden_group_size_x
      - .offset:         150
        .size:           2
        .value_kind:     hidden_group_size_y
      - .offset:         152
        .size:           2
        .value_kind:     hidden_group_size_z
      - .offset:         154
        .size:           2
        .value_kind:     hidden_remainder_x
      - .offset:         156
        .size:           2
        .value_kind:     hidden_remainder_y
      - .offset:         158
        .size:           2
        .value_kind:     hidden_remainder_z
      - .offset:         176
        .size:           8
        .value_kind:     hidden_global_offset_x
      - .offset:         184
        .size:           8
        .value_kind:     hidden_global_offset_y
      - .offset:         192
        .size:           8
        .value_kind:     hidden_global_offset_z
      - .offset:         200
        .size:           2
        .value_kind:     hidden_grid_dims
    .group_segment_fixed_size: 1024
    .kernarg_segment_align: 8
    .kernarg_segment_size: 392
    .language:       OpenCL C
    .language_version:
      - 2
      - 0
    .max_flat_workgroup_size: 64
    .name:           _ZN9rocsparseL29bsrmmnt_small_blockdim_kernelILj64ELj8ELj2EiiffffEEv20rocsparse_direction_T3_S2_llNS_24const_host_device_scalarIT7_EEPKT2_PKS2_PKT4_PKT5_llS5_PT6_ll16rocsparse_order_21rocsparse_index_base_b
    .private_segment_fixed_size: 0
    .sgpr_count:     28
    .sgpr_spill_count: 0
    .symbol:         _ZN9rocsparseL29bsrmmnt_small_blockdim_kernelILj64ELj8ELj2EiiffffEEv20rocsparse_direction_T3_S2_llNS_24const_host_device_scalarIT7_EEPKT2_PKS2_PKT4_PKT5_llS5_PT6_ll16rocsparse_order_21rocsparse_index_base_b.kd
    .uniform_work_group_size: 1
    .uses_dynamic_stack: false
    .vgpr_count:     30
    .vgpr_spill_count: 0
    .wavefront_size: 32
  - .args:
      - .offset:         0
        .size:           4
        .value_kind:     by_value
      - .offset:         4
        .size:           4
        .value_kind:     by_value
      - .offset:         8
        .size:           4
        .value_kind:     by_value
      - .offset:         16
        .size:           8
        .value_kind:     by_value
      - .offset:         24
        .size:           8
        .value_kind:     by_value
      - .offset:         32
        .size:           8
        .value_kind:     by_value
      - .actual_access:  read_only
        .address_space:  global
        .offset:         40
        .size:           8
        .value_kind:     global_buffer
      - .actual_access:  read_only
        .address_space:  global
        .offset:         48
        .size:           8
        .value_kind:     global_buffer
      - .actual_access:  read_only
        .address_space:  global
        .offset:         56
        .size:           8
        .value_kind:     global_buffer
      - .actual_access:  read_only
        .address_space:  global
        .offset:         64
        .size:           8
        .value_kind:     global_buffer
      - .offset:         72
        .size:           8
        .value_kind:     by_value
      - .offset:         80
        .size:           8
        .value_kind:     by_value
      - .offset:         88
        .size:           8
        .value_kind:     by_value
      - .address_space:  global
        .offset:         96
        .size:           8
        .value_kind:     global_buffer
      - .offset:         104
        .size:           8
        .value_kind:     by_value
      - .offset:         112
        .size:           8
        .value_kind:     by_value
      - .offset:         120
        .size:           4
        .value_kind:     by_value
      - .offset:         124
        .size:           4
        .value_kind:     by_value
      - .offset:         128
        .size:           1
        .value_kind:     by_value
      - .offset:         136
        .size:           4
        .value_kind:     hidden_block_count_x
      - .offset:         140
        .size:           4
        .value_kind:     hidden_block_count_y
      - .offset:         144
        .size:           4
        .value_kind:     hidden_block_count_z
      - .offset:         148
        .size:           2
        .value_kind:     hidden_group_size_x
      - .offset:         150
        .size:           2
        .value_kind:     hidden_group_size_y
      - .offset:         152
        .size:           2
        .value_kind:     hidden_group_size_z
      - .offset:         154
        .size:           2
        .value_kind:     hidden_remainder_x
      - .offset:         156
        .size:           2
        .value_kind:     hidden_remainder_y
      - .offset:         158
        .size:           2
        .value_kind:     hidden_remainder_z
      - .offset:         176
        .size:           8
        .value_kind:     hidden_global_offset_x
      - .offset:         184
        .size:           8
        .value_kind:     hidden_global_offset_y
      - .offset:         192
        .size:           8
        .value_kind:     hidden_global_offset_z
      - .offset:         200
        .size:           2
        .value_kind:     hidden_grid_dims
    .group_segment_fixed_size: 1024
    .kernarg_segment_align: 8
    .kernarg_segment_size: 392
    .language:       OpenCL C
    .language_version:
      - 2
      - 0
    .max_flat_workgroup_size: 64
    .name:           _ZN9rocsparseL29bsrmmnt_small_blockdim_kernelILj64ELj16ELj2EiiffffEEv20rocsparse_direction_T3_S2_llNS_24const_host_device_scalarIT7_EEPKT2_PKS2_PKT4_PKT5_llS5_PT6_ll16rocsparse_order_21rocsparse_index_base_b
    .private_segment_fixed_size: 0
    .sgpr_count:     28
    .sgpr_spill_count: 0
    .symbol:         _ZN9rocsparseL29bsrmmnt_small_blockdim_kernelILj64ELj16ELj2EiiffffEEv20rocsparse_direction_T3_S2_llNS_24const_host_device_scalarIT7_EEPKT2_PKS2_PKT4_PKT5_llS5_PT6_ll16rocsparse_order_21rocsparse_index_base_b.kd
    .uniform_work_group_size: 1
    .uses_dynamic_stack: false
    .vgpr_count:     30
    .vgpr_spill_count: 0
    .wavefront_size: 32
  - .args:
      - .offset:         0
        .size:           4
        .value_kind:     by_value
      - .offset:         4
        .size:           4
        .value_kind:     by_value
      - .offset:         8
        .size:           4
        .value_kind:     by_value
      - .offset:         16
        .size:           8
        .value_kind:     by_value
      - .offset:         24
        .size:           8
        .value_kind:     by_value
      - .offset:         32
        .size:           8
        .value_kind:     by_value
      - .actual_access:  read_only
        .address_space:  global
        .offset:         40
        .size:           8
        .value_kind:     global_buffer
      - .actual_access:  read_only
        .address_space:  global
        .offset:         48
        .size:           8
        .value_kind:     global_buffer
      - .actual_access:  read_only
        .address_space:  global
        .offset:         56
        .size:           8
        .value_kind:     global_buffer
      - .actual_access:  read_only
        .address_space:  global
        .offset:         64
        .size:           8
        .value_kind:     global_buffer
      - .offset:         72
        .size:           8
        .value_kind:     by_value
      - .offset:         80
        .size:           8
        .value_kind:     by_value
      - .offset:         88
        .size:           8
        .value_kind:     by_value
      - .address_space:  global
        .offset:         96
        .size:           8
        .value_kind:     global_buffer
      - .offset:         104
        .size:           8
        .value_kind:     by_value
      - .offset:         112
        .size:           8
        .value_kind:     by_value
      - .offset:         120
        .size:           4
        .value_kind:     by_value
      - .offset:         124
        .size:           4
        .value_kind:     by_value
      - .offset:         128
        .size:           1
        .value_kind:     by_value
      - .offset:         136
        .size:           4
        .value_kind:     hidden_block_count_x
      - .offset:         140
        .size:           4
        .value_kind:     hidden_block_count_y
      - .offset:         144
        .size:           4
        .value_kind:     hidden_block_count_z
      - .offset:         148
        .size:           2
        .value_kind:     hidden_group_size_x
      - .offset:         150
        .size:           2
        .value_kind:     hidden_group_size_y
      - .offset:         152
        .size:           2
        .value_kind:     hidden_group_size_z
      - .offset:         154
        .size:           2
        .value_kind:     hidden_remainder_x
      - .offset:         156
        .size:           2
        .value_kind:     hidden_remainder_y
      - .offset:         158
        .size:           2
        .value_kind:     hidden_remainder_z
      - .offset:         176
        .size:           8
        .value_kind:     hidden_global_offset_x
      - .offset:         184
        .size:           8
        .value_kind:     hidden_global_offset_y
      - .offset:         192
        .size:           8
        .value_kind:     hidden_global_offset_z
      - .offset:         200
        .size:           2
        .value_kind:     hidden_grid_dims
    .group_segment_fixed_size: 1024
    .kernarg_segment_align: 8
    .kernarg_segment_size: 392
    .language:       OpenCL C
    .language_version:
      - 2
      - 0
    .max_flat_workgroup_size: 64
    .name:           _ZN9rocsparseL29bsrmmnt_small_blockdim_kernelILj64ELj32ELj2EiiffffEEv20rocsparse_direction_T3_S2_llNS_24const_host_device_scalarIT7_EEPKT2_PKS2_PKT4_PKT5_llS5_PT6_ll16rocsparse_order_21rocsparse_index_base_b
    .private_segment_fixed_size: 0
    .sgpr_count:     28
    .sgpr_spill_count: 0
    .symbol:         _ZN9rocsparseL29bsrmmnt_small_blockdim_kernelILj64ELj32ELj2EiiffffEEv20rocsparse_direction_T3_S2_llNS_24const_host_device_scalarIT7_EEPKT2_PKS2_PKT4_PKT5_llS5_PT6_ll16rocsparse_order_21rocsparse_index_base_b.kd
    .uniform_work_group_size: 1
    .uses_dynamic_stack: false
    .vgpr_count:     30
    .vgpr_spill_count: 0
    .wavefront_size: 32
  - .args:
      - .offset:         0
        .size:           4
        .value_kind:     by_value
      - .offset:         4
        .size:           4
        .value_kind:     by_value
      - .offset:         8
        .size:           4
        .value_kind:     by_value
      - .offset:         16
        .size:           8
        .value_kind:     by_value
      - .offset:         24
        .size:           8
        .value_kind:     by_value
      - .offset:         32
        .size:           8
        .value_kind:     by_value
      - .actual_access:  read_only
        .address_space:  global
        .offset:         40
        .size:           8
        .value_kind:     global_buffer
      - .actual_access:  read_only
        .address_space:  global
        .offset:         48
        .size:           8
        .value_kind:     global_buffer
      - .actual_access:  read_only
        .address_space:  global
        .offset:         56
        .size:           8
        .value_kind:     global_buffer
      - .actual_access:  read_only
        .address_space:  global
        .offset:         64
        .size:           8
        .value_kind:     global_buffer
      - .offset:         72
        .size:           8
        .value_kind:     by_value
      - .offset:         80
        .size:           8
        .value_kind:     by_value
      - .offset:         88
        .size:           8
        .value_kind:     by_value
      - .address_space:  global
        .offset:         96
        .size:           8
        .value_kind:     global_buffer
      - .offset:         104
        .size:           8
        .value_kind:     by_value
      - .offset:         112
        .size:           8
        .value_kind:     by_value
      - .offset:         120
        .size:           4
        .value_kind:     by_value
      - .offset:         124
        .size:           4
        .value_kind:     by_value
      - .offset:         128
        .size:           1
        .value_kind:     by_value
      - .offset:         136
        .size:           4
        .value_kind:     hidden_block_count_x
      - .offset:         140
        .size:           4
        .value_kind:     hidden_block_count_y
      - .offset:         144
        .size:           4
        .value_kind:     hidden_block_count_z
      - .offset:         148
        .size:           2
        .value_kind:     hidden_group_size_x
      - .offset:         150
        .size:           2
        .value_kind:     hidden_group_size_y
      - .offset:         152
        .size:           2
        .value_kind:     hidden_group_size_z
      - .offset:         154
        .size:           2
        .value_kind:     hidden_remainder_x
      - .offset:         156
        .size:           2
        .value_kind:     hidden_remainder_y
      - .offset:         158
        .size:           2
        .value_kind:     hidden_remainder_z
      - .offset:         176
        .size:           8
        .value_kind:     hidden_global_offset_x
      - .offset:         184
        .size:           8
        .value_kind:     hidden_global_offset_y
      - .offset:         192
        .size:           8
        .value_kind:     hidden_global_offset_z
      - .offset:         200
        .size:           2
        .value_kind:     hidden_grid_dims
    .group_segment_fixed_size: 1024
    .kernarg_segment_align: 8
    .kernarg_segment_size: 392
    .language:       OpenCL C
    .language_version:
      - 2
      - 0
    .max_flat_workgroup_size: 64
    .name:           _ZN9rocsparseL29bsrmmnt_small_blockdim_kernelILj64ELj64ELj2EiiffffEEv20rocsparse_direction_T3_S2_llNS_24const_host_device_scalarIT7_EEPKT2_PKS2_PKT4_PKT5_llS5_PT6_ll16rocsparse_order_21rocsparse_index_base_b
    .private_segment_fixed_size: 0
    .sgpr_count:     28
    .sgpr_spill_count: 0
    .symbol:         _ZN9rocsparseL29bsrmmnt_small_blockdim_kernelILj64ELj64ELj2EiiffffEEv20rocsparse_direction_T3_S2_llNS_24const_host_device_scalarIT7_EEPKT2_PKS2_PKT4_PKT5_llS5_PT6_ll16rocsparse_order_21rocsparse_index_base_b.kd
    .uniform_work_group_size: 1
    .uses_dynamic_stack: false
    .vgpr_count:     28
    .vgpr_spill_count: 0
    .wavefront_size: 32
  - .args:
      - .offset:         0
        .size:           4
        .value_kind:     by_value
      - .offset:         4
        .size:           4
        .value_kind:     by_value
      - .offset:         8
        .size:           4
        .value_kind:     by_value
      - .offset:         16
        .size:           8
        .value_kind:     by_value
      - .offset:         24
        .size:           8
        .value_kind:     by_value
      - .offset:         32
        .size:           8
        .value_kind:     by_value
      - .actual_access:  read_only
        .address_space:  global
        .offset:         40
        .size:           8
        .value_kind:     global_buffer
      - .actual_access:  read_only
        .address_space:  global
        .offset:         48
        .size:           8
        .value_kind:     global_buffer
      - .actual_access:  read_only
        .address_space:  global
        .offset:         56
        .size:           8
        .value_kind:     global_buffer
      - .actual_access:  read_only
        .address_space:  global
        .offset:         64
        .size:           8
        .value_kind:     global_buffer
      - .offset:         72
        .size:           8
        .value_kind:     by_value
      - .offset:         80
        .size:           8
        .value_kind:     by_value
      - .offset:         88
        .size:           8
        .value_kind:     by_value
      - .address_space:  global
        .offset:         96
        .size:           8
        .value_kind:     global_buffer
      - .offset:         104
        .size:           8
        .value_kind:     by_value
      - .offset:         112
        .size:           8
        .value_kind:     by_value
      - .offset:         120
        .size:           4
        .value_kind:     by_value
      - .offset:         124
        .size:           4
        .value_kind:     by_value
      - .offset:         128
        .size:           1
        .value_kind:     by_value
      - .offset:         136
        .size:           4
        .value_kind:     hidden_block_count_x
      - .offset:         140
        .size:           4
        .value_kind:     hidden_block_count_y
      - .offset:         144
        .size:           4
        .value_kind:     hidden_block_count_z
      - .offset:         148
        .size:           2
        .value_kind:     hidden_group_size_x
      - .offset:         150
        .size:           2
        .value_kind:     hidden_group_size_y
      - .offset:         152
        .size:           2
        .value_kind:     hidden_group_size_z
      - .offset:         154
        .size:           2
        .value_kind:     hidden_remainder_x
      - .offset:         156
        .size:           2
        .value_kind:     hidden_remainder_y
      - .offset:         158
        .size:           2
        .value_kind:     hidden_remainder_z
      - .offset:         176
        .size:           8
        .value_kind:     hidden_global_offset_x
      - .offset:         184
        .size:           8
        .value_kind:     hidden_global_offset_y
      - .offset:         192
        .size:           8
        .value_kind:     hidden_global_offset_z
      - .offset:         200
        .size:           2
        .value_kind:     hidden_grid_dims
    .group_segment_fixed_size: 1024
    .kernarg_segment_align: 8
    .kernarg_segment_size: 392
    .language:       OpenCL C
    .language_version:
      - 2
      - 0
    .max_flat_workgroup_size: 64
    .name:           _ZN9rocsparseL29bsrmmnt_small_blockdim_kernelILj64ELj8ELj2EliffffEEv20rocsparse_direction_T3_S2_llNS_24const_host_device_scalarIT7_EEPKT2_PKS2_PKT4_PKT5_llS5_PT6_ll16rocsparse_order_21rocsparse_index_base_b
    .private_segment_fixed_size: 0
    .sgpr_count:     28
    .sgpr_spill_count: 0
    .symbol:         _ZN9rocsparseL29bsrmmnt_small_blockdim_kernelILj64ELj8ELj2EliffffEEv20rocsparse_direction_T3_S2_llNS_24const_host_device_scalarIT7_EEPKT2_PKS2_PKT4_PKT5_llS5_PT6_ll16rocsparse_order_21rocsparse_index_base_b.kd
    .uniform_work_group_size: 1
    .uses_dynamic_stack: false
    .vgpr_count:     34
    .vgpr_spill_count: 0
    .wavefront_size: 32
  - .args:
      - .offset:         0
        .size:           4
        .value_kind:     by_value
      - .offset:         4
        .size:           4
        .value_kind:     by_value
      - .offset:         8
        .size:           4
        .value_kind:     by_value
      - .offset:         16
        .size:           8
        .value_kind:     by_value
      - .offset:         24
        .size:           8
        .value_kind:     by_value
      - .offset:         32
        .size:           8
        .value_kind:     by_value
      - .actual_access:  read_only
        .address_space:  global
        .offset:         40
        .size:           8
        .value_kind:     global_buffer
      - .actual_access:  read_only
        .address_space:  global
        .offset:         48
        .size:           8
        .value_kind:     global_buffer
      - .actual_access:  read_only
        .address_space:  global
        .offset:         56
        .size:           8
        .value_kind:     global_buffer
      - .actual_access:  read_only
        .address_space:  global
        .offset:         64
        .size:           8
        .value_kind:     global_buffer
      - .offset:         72
        .size:           8
        .value_kind:     by_value
      - .offset:         80
        .size:           8
        .value_kind:     by_value
      - .offset:         88
        .size:           8
        .value_kind:     by_value
      - .address_space:  global
        .offset:         96
        .size:           8
        .value_kind:     global_buffer
      - .offset:         104
        .size:           8
        .value_kind:     by_value
      - .offset:         112
        .size:           8
        .value_kind:     by_value
      - .offset:         120
        .size:           4
        .value_kind:     by_value
      - .offset:         124
        .size:           4
        .value_kind:     by_value
      - .offset:         128
        .size:           1
        .value_kind:     by_value
      - .offset:         136
        .size:           4
        .value_kind:     hidden_block_count_x
      - .offset:         140
        .size:           4
        .value_kind:     hidden_block_count_y
      - .offset:         144
        .size:           4
        .value_kind:     hidden_block_count_z
      - .offset:         148
        .size:           2
        .value_kind:     hidden_group_size_x
      - .offset:         150
        .size:           2
        .value_kind:     hidden_group_size_y
      - .offset:         152
        .size:           2
        .value_kind:     hidden_group_size_z
      - .offset:         154
        .size:           2
        .value_kind:     hidden_remainder_x
      - .offset:         156
        .size:           2
        .value_kind:     hidden_remainder_y
      - .offset:         158
        .size:           2
        .value_kind:     hidden_remainder_z
      - .offset:         176
        .size:           8
        .value_kind:     hidden_global_offset_x
      - .offset:         184
        .size:           8
        .value_kind:     hidden_global_offset_y
      - .offset:         192
        .size:           8
        .value_kind:     hidden_global_offset_z
      - .offset:         200
        .size:           2
        .value_kind:     hidden_grid_dims
    .group_segment_fixed_size: 1024
    .kernarg_segment_align: 8
    .kernarg_segment_size: 392
    .language:       OpenCL C
    .language_version:
      - 2
      - 0
    .max_flat_workgroup_size: 64
    .name:           _ZN9rocsparseL29bsrmmnt_small_blockdim_kernelILj64ELj16ELj2EliffffEEv20rocsparse_direction_T3_S2_llNS_24const_host_device_scalarIT7_EEPKT2_PKS2_PKT4_PKT5_llS5_PT6_ll16rocsparse_order_21rocsparse_index_base_b
    .private_segment_fixed_size: 0
    .sgpr_count:     28
    .sgpr_spill_count: 0
    .symbol:         _ZN9rocsparseL29bsrmmnt_small_blockdim_kernelILj64ELj16ELj2EliffffEEv20rocsparse_direction_T3_S2_llNS_24const_host_device_scalarIT7_EEPKT2_PKS2_PKT4_PKT5_llS5_PT6_ll16rocsparse_order_21rocsparse_index_base_b.kd
    .uniform_work_group_size: 1
    .uses_dynamic_stack: false
    .vgpr_count:     34
    .vgpr_spill_count: 0
    .wavefront_size: 32
  - .args:
      - .offset:         0
        .size:           4
        .value_kind:     by_value
      - .offset:         4
        .size:           4
        .value_kind:     by_value
      - .offset:         8
        .size:           4
        .value_kind:     by_value
      - .offset:         16
        .size:           8
        .value_kind:     by_value
      - .offset:         24
        .size:           8
        .value_kind:     by_value
      - .offset:         32
        .size:           8
        .value_kind:     by_value
      - .actual_access:  read_only
        .address_space:  global
        .offset:         40
        .size:           8
        .value_kind:     global_buffer
      - .actual_access:  read_only
        .address_space:  global
        .offset:         48
        .size:           8
        .value_kind:     global_buffer
      - .actual_access:  read_only
        .address_space:  global
        .offset:         56
        .size:           8
        .value_kind:     global_buffer
      - .actual_access:  read_only
        .address_space:  global
        .offset:         64
        .size:           8
        .value_kind:     global_buffer
      - .offset:         72
        .size:           8
        .value_kind:     by_value
      - .offset:         80
        .size:           8
        .value_kind:     by_value
      - .offset:         88
        .size:           8
        .value_kind:     by_value
      - .address_space:  global
        .offset:         96
        .size:           8
        .value_kind:     global_buffer
      - .offset:         104
        .size:           8
        .value_kind:     by_value
      - .offset:         112
        .size:           8
        .value_kind:     by_value
      - .offset:         120
        .size:           4
        .value_kind:     by_value
      - .offset:         124
        .size:           4
        .value_kind:     by_value
      - .offset:         128
        .size:           1
        .value_kind:     by_value
      - .offset:         136
        .size:           4
        .value_kind:     hidden_block_count_x
      - .offset:         140
        .size:           4
        .value_kind:     hidden_block_count_y
      - .offset:         144
        .size:           4
        .value_kind:     hidden_block_count_z
      - .offset:         148
        .size:           2
        .value_kind:     hidden_group_size_x
      - .offset:         150
        .size:           2
        .value_kind:     hidden_group_size_y
      - .offset:         152
        .size:           2
        .value_kind:     hidden_group_size_z
      - .offset:         154
        .size:           2
        .value_kind:     hidden_remainder_x
      - .offset:         156
        .size:           2
        .value_kind:     hidden_remainder_y
      - .offset:         158
        .size:           2
        .value_kind:     hidden_remainder_z
      - .offset:         176
        .size:           8
        .value_kind:     hidden_global_offset_x
      - .offset:         184
        .size:           8
        .value_kind:     hidden_global_offset_y
      - .offset:         192
        .size:           8
        .value_kind:     hidden_global_offset_z
      - .offset:         200
        .size:           2
        .value_kind:     hidden_grid_dims
    .group_segment_fixed_size: 1024
    .kernarg_segment_align: 8
    .kernarg_segment_size: 392
    .language:       OpenCL C
    .language_version:
      - 2
      - 0
    .max_flat_workgroup_size: 64
    .name:           _ZN9rocsparseL29bsrmmnt_small_blockdim_kernelILj64ELj32ELj2EliffffEEv20rocsparse_direction_T3_S2_llNS_24const_host_device_scalarIT7_EEPKT2_PKS2_PKT4_PKT5_llS5_PT6_ll16rocsparse_order_21rocsparse_index_base_b
    .private_segment_fixed_size: 0
    .sgpr_count:     28
    .sgpr_spill_count: 0
    .symbol:         _ZN9rocsparseL29bsrmmnt_small_blockdim_kernelILj64ELj32ELj2EliffffEEv20rocsparse_direction_T3_S2_llNS_24const_host_device_scalarIT7_EEPKT2_PKS2_PKT4_PKT5_llS5_PT6_ll16rocsparse_order_21rocsparse_index_base_b.kd
    .uniform_work_group_size: 1
    .uses_dynamic_stack: false
    .vgpr_count:     34
    .vgpr_spill_count: 0
    .wavefront_size: 32
  - .args:
      - .offset:         0
        .size:           4
        .value_kind:     by_value
      - .offset:         4
        .size:           4
        .value_kind:     by_value
      - .offset:         8
        .size:           4
        .value_kind:     by_value
      - .offset:         16
        .size:           8
        .value_kind:     by_value
      - .offset:         24
        .size:           8
        .value_kind:     by_value
      - .offset:         32
        .size:           8
        .value_kind:     by_value
      - .actual_access:  read_only
        .address_space:  global
        .offset:         40
        .size:           8
        .value_kind:     global_buffer
      - .actual_access:  read_only
        .address_space:  global
        .offset:         48
        .size:           8
        .value_kind:     global_buffer
      - .actual_access:  read_only
        .address_space:  global
        .offset:         56
        .size:           8
        .value_kind:     global_buffer
      - .actual_access:  read_only
        .address_space:  global
        .offset:         64
        .size:           8
        .value_kind:     global_buffer
      - .offset:         72
        .size:           8
        .value_kind:     by_value
      - .offset:         80
        .size:           8
        .value_kind:     by_value
      - .offset:         88
        .size:           8
        .value_kind:     by_value
      - .address_space:  global
        .offset:         96
        .size:           8
        .value_kind:     global_buffer
      - .offset:         104
        .size:           8
        .value_kind:     by_value
      - .offset:         112
        .size:           8
        .value_kind:     by_value
      - .offset:         120
        .size:           4
        .value_kind:     by_value
      - .offset:         124
        .size:           4
        .value_kind:     by_value
      - .offset:         128
        .size:           1
        .value_kind:     by_value
      - .offset:         136
        .size:           4
        .value_kind:     hidden_block_count_x
      - .offset:         140
        .size:           4
        .value_kind:     hidden_block_count_y
      - .offset:         144
        .size:           4
        .value_kind:     hidden_block_count_z
      - .offset:         148
        .size:           2
        .value_kind:     hidden_group_size_x
      - .offset:         150
        .size:           2
        .value_kind:     hidden_group_size_y
      - .offset:         152
        .size:           2
        .value_kind:     hidden_group_size_z
      - .offset:         154
        .size:           2
        .value_kind:     hidden_remainder_x
      - .offset:         156
        .size:           2
        .value_kind:     hidden_remainder_y
      - .offset:         158
        .size:           2
        .value_kind:     hidden_remainder_z
      - .offset:         176
        .size:           8
        .value_kind:     hidden_global_offset_x
      - .offset:         184
        .size:           8
        .value_kind:     hidden_global_offset_y
      - .offset:         192
        .size:           8
        .value_kind:     hidden_global_offset_z
      - .offset:         200
        .size:           2
        .value_kind:     hidden_grid_dims
    .group_segment_fixed_size: 1024
    .kernarg_segment_align: 8
    .kernarg_segment_size: 392
    .language:       OpenCL C
    .language_version:
      - 2
      - 0
    .max_flat_workgroup_size: 64
    .name:           _ZN9rocsparseL29bsrmmnt_small_blockdim_kernelILj64ELj64ELj2EliffffEEv20rocsparse_direction_T3_S2_llNS_24const_host_device_scalarIT7_EEPKT2_PKS2_PKT4_PKT5_llS5_PT6_ll16rocsparse_order_21rocsparse_index_base_b
    .private_segment_fixed_size: 0
    .sgpr_count:     28
    .sgpr_spill_count: 0
    .symbol:         _ZN9rocsparseL29bsrmmnt_small_blockdim_kernelILj64ELj64ELj2EliffffEEv20rocsparse_direction_T3_S2_llNS_24const_host_device_scalarIT7_EEPKT2_PKS2_PKT4_PKT5_llS5_PT6_ll16rocsparse_order_21rocsparse_index_base_b.kd
    .uniform_work_group_size: 1
    .uses_dynamic_stack: false
    .vgpr_count:     32
    .vgpr_spill_count: 0
    .wavefront_size: 32
  - .args:
      - .offset:         0
        .size:           4
        .value_kind:     by_value
      - .offset:         8
        .size:           8
        .value_kind:     by_value
      - .offset:         16
        .size:           8
        .value_kind:     by_value
      - .offset:         24
        .size:           8
        .value_kind:     by_value
      - .offset:         32
        .size:           8
        .value_kind:     by_value
      - .offset:         40
        .size:           8
        .value_kind:     by_value
      - .actual_access:  read_only
        .address_space:  global
        .offset:         48
        .size:           8
        .value_kind:     global_buffer
      - .actual_access:  read_only
        .address_space:  global
        .offset:         56
        .size:           8
        .value_kind:     global_buffer
      - .actual_access:  read_only
        .address_space:  global
        .offset:         64
        .size:           8
        .value_kind:     global_buffer
      - .actual_access:  read_only
        .address_space:  global
        .offset:         72
        .size:           8
        .value_kind:     global_buffer
      - .offset:         80
        .size:           8
        .value_kind:     by_value
      - .offset:         88
        .size:           8
        .value_kind:     by_value
      - .offset:         96
        .size:           8
        .value_kind:     by_value
      - .address_space:  global
        .offset:         104
        .size:           8
        .value_kind:     global_buffer
      - .offset:         112
        .size:           8
        .value_kind:     by_value
      - .offset:         120
        .size:           8
        .value_kind:     by_value
      - .offset:         128
        .size:           4
        .value_kind:     by_value
      - .offset:         132
        .size:           4
        .value_kind:     by_value
      - .offset:         136
        .size:           1
        .value_kind:     by_value
      - .offset:         144
        .size:           4
        .value_kind:     hidden_block_count_x
      - .offset:         148
        .size:           4
        .value_kind:     hidden_block_count_y
      - .offset:         152
        .size:           4
        .value_kind:     hidden_block_count_z
      - .offset:         156
        .size:           2
        .value_kind:     hidden_group_size_x
      - .offset:         158
        .size:           2
        .value_kind:     hidden_group_size_y
      - .offset:         160
        .size:           2
        .value_kind:     hidden_group_size_z
      - .offset:         162
        .size:           2
        .value_kind:     hidden_remainder_x
      - .offset:         164
        .size:           2
        .value_kind:     hidden_remainder_y
      - .offset:         166
        .size:           2
        .value_kind:     hidden_remainder_z
      - .offset:         184
        .size:           8
        .value_kind:     hidden_global_offset_x
      - .offset:         192
        .size:           8
        .value_kind:     hidden_global_offset_y
      - .offset:         200
        .size:           8
        .value_kind:     hidden_global_offset_z
      - .offset:         208
        .size:           2
        .value_kind:     hidden_grid_dims
    .group_segment_fixed_size: 1280
    .kernarg_segment_align: 8
    .kernarg_segment_size: 400
    .language:       OpenCL C
    .language_version:
      - 2
      - 0
    .max_flat_workgroup_size: 64
    .name:           _ZN9rocsparseL29bsrmmnt_small_blockdim_kernelILj64ELj8ELj2EllffffEEv20rocsparse_direction_T3_S2_llNS_24const_host_device_scalarIT7_EEPKT2_PKS2_PKT4_PKT5_llS5_PT6_ll16rocsparse_order_21rocsparse_index_base_b
    .private_segment_fixed_size: 0
    .sgpr_count:     29
    .sgpr_spill_count: 0
    .symbol:         _ZN9rocsparseL29bsrmmnt_small_blockdim_kernelILj64ELj8ELj2EllffffEEv20rocsparse_direction_T3_S2_llNS_24const_host_device_scalarIT7_EEPKT2_PKS2_PKT4_PKT5_llS5_PT6_ll16rocsparse_order_21rocsparse_index_base_b.kd
    .uniform_work_group_size: 1
    .uses_dynamic_stack: false
    .vgpr_count:     32
    .vgpr_spill_count: 0
    .wavefront_size: 32
  - .args:
      - .offset:         0
        .size:           4
        .value_kind:     by_value
      - .offset:         8
        .size:           8
        .value_kind:     by_value
      - .offset:         16
        .size:           8
        .value_kind:     by_value
      - .offset:         24
        .size:           8
        .value_kind:     by_value
      - .offset:         32
        .size:           8
        .value_kind:     by_value
      - .offset:         40
        .size:           8
        .value_kind:     by_value
      - .actual_access:  read_only
        .address_space:  global
        .offset:         48
        .size:           8
        .value_kind:     global_buffer
      - .actual_access:  read_only
        .address_space:  global
        .offset:         56
        .size:           8
        .value_kind:     global_buffer
      - .actual_access:  read_only
        .address_space:  global
        .offset:         64
        .size:           8
        .value_kind:     global_buffer
      - .actual_access:  read_only
        .address_space:  global
        .offset:         72
        .size:           8
        .value_kind:     global_buffer
      - .offset:         80
        .size:           8
        .value_kind:     by_value
      - .offset:         88
        .size:           8
        .value_kind:     by_value
      - .offset:         96
        .size:           8
        .value_kind:     by_value
      - .address_space:  global
        .offset:         104
        .size:           8
        .value_kind:     global_buffer
      - .offset:         112
        .size:           8
        .value_kind:     by_value
      - .offset:         120
        .size:           8
        .value_kind:     by_value
      - .offset:         128
        .size:           4
        .value_kind:     by_value
      - .offset:         132
        .size:           4
        .value_kind:     by_value
      - .offset:         136
        .size:           1
        .value_kind:     by_value
      - .offset:         144
        .size:           4
        .value_kind:     hidden_block_count_x
      - .offset:         148
        .size:           4
        .value_kind:     hidden_block_count_y
      - .offset:         152
        .size:           4
        .value_kind:     hidden_block_count_z
      - .offset:         156
        .size:           2
        .value_kind:     hidden_group_size_x
      - .offset:         158
        .size:           2
        .value_kind:     hidden_group_size_y
      - .offset:         160
        .size:           2
        .value_kind:     hidden_group_size_z
      - .offset:         162
        .size:           2
        .value_kind:     hidden_remainder_x
      - .offset:         164
        .size:           2
        .value_kind:     hidden_remainder_y
      - .offset:         166
        .size:           2
        .value_kind:     hidden_remainder_z
      - .offset:         184
        .size:           8
        .value_kind:     hidden_global_offset_x
      - .offset:         192
        .size:           8
        .value_kind:     hidden_global_offset_y
      - .offset:         200
        .size:           8
        .value_kind:     hidden_global_offset_z
      - .offset:         208
        .size:           2
        .value_kind:     hidden_grid_dims
    .group_segment_fixed_size: 1280
    .kernarg_segment_align: 8
    .kernarg_segment_size: 400
    .language:       OpenCL C
    .language_version:
      - 2
      - 0
    .max_flat_workgroup_size: 64
    .name:           _ZN9rocsparseL29bsrmmnt_small_blockdim_kernelILj64ELj16ELj2EllffffEEv20rocsparse_direction_T3_S2_llNS_24const_host_device_scalarIT7_EEPKT2_PKS2_PKT4_PKT5_llS5_PT6_ll16rocsparse_order_21rocsparse_index_base_b
    .private_segment_fixed_size: 0
    .sgpr_count:     29
    .sgpr_spill_count: 0
    .symbol:         _ZN9rocsparseL29bsrmmnt_small_blockdim_kernelILj64ELj16ELj2EllffffEEv20rocsparse_direction_T3_S2_llNS_24const_host_device_scalarIT7_EEPKT2_PKS2_PKT4_PKT5_llS5_PT6_ll16rocsparse_order_21rocsparse_index_base_b.kd
    .uniform_work_group_size: 1
    .uses_dynamic_stack: false
    .vgpr_count:     32
    .vgpr_spill_count: 0
    .wavefront_size: 32
  - .args:
      - .offset:         0
        .size:           4
        .value_kind:     by_value
      - .offset:         8
        .size:           8
        .value_kind:     by_value
      - .offset:         16
        .size:           8
        .value_kind:     by_value
      - .offset:         24
        .size:           8
        .value_kind:     by_value
      - .offset:         32
        .size:           8
        .value_kind:     by_value
      - .offset:         40
        .size:           8
        .value_kind:     by_value
      - .actual_access:  read_only
        .address_space:  global
        .offset:         48
        .size:           8
        .value_kind:     global_buffer
      - .actual_access:  read_only
        .address_space:  global
        .offset:         56
        .size:           8
        .value_kind:     global_buffer
      - .actual_access:  read_only
        .address_space:  global
        .offset:         64
        .size:           8
        .value_kind:     global_buffer
      - .actual_access:  read_only
        .address_space:  global
        .offset:         72
        .size:           8
        .value_kind:     global_buffer
      - .offset:         80
        .size:           8
        .value_kind:     by_value
      - .offset:         88
        .size:           8
        .value_kind:     by_value
      - .offset:         96
        .size:           8
        .value_kind:     by_value
      - .address_space:  global
        .offset:         104
        .size:           8
        .value_kind:     global_buffer
      - .offset:         112
        .size:           8
        .value_kind:     by_value
      - .offset:         120
        .size:           8
        .value_kind:     by_value
      - .offset:         128
        .size:           4
        .value_kind:     by_value
      - .offset:         132
        .size:           4
        .value_kind:     by_value
      - .offset:         136
        .size:           1
        .value_kind:     by_value
      - .offset:         144
        .size:           4
        .value_kind:     hidden_block_count_x
      - .offset:         148
        .size:           4
        .value_kind:     hidden_block_count_y
      - .offset:         152
        .size:           4
        .value_kind:     hidden_block_count_z
      - .offset:         156
        .size:           2
        .value_kind:     hidden_group_size_x
      - .offset:         158
        .size:           2
        .value_kind:     hidden_group_size_y
      - .offset:         160
        .size:           2
        .value_kind:     hidden_group_size_z
      - .offset:         162
        .size:           2
        .value_kind:     hidden_remainder_x
      - .offset:         164
        .size:           2
        .value_kind:     hidden_remainder_y
      - .offset:         166
        .size:           2
        .value_kind:     hidden_remainder_z
      - .offset:         184
        .size:           8
        .value_kind:     hidden_global_offset_x
      - .offset:         192
        .size:           8
        .value_kind:     hidden_global_offset_y
      - .offset:         200
        .size:           8
        .value_kind:     hidden_global_offset_z
      - .offset:         208
        .size:           2
        .value_kind:     hidden_grid_dims
    .group_segment_fixed_size: 1280
    .kernarg_segment_align: 8
    .kernarg_segment_size: 400
    .language:       OpenCL C
    .language_version:
      - 2
      - 0
    .max_flat_workgroup_size: 64
    .name:           _ZN9rocsparseL29bsrmmnt_small_blockdim_kernelILj64ELj32ELj2EllffffEEv20rocsparse_direction_T3_S2_llNS_24const_host_device_scalarIT7_EEPKT2_PKS2_PKT4_PKT5_llS5_PT6_ll16rocsparse_order_21rocsparse_index_base_b
    .private_segment_fixed_size: 0
    .sgpr_count:     29
    .sgpr_spill_count: 0
    .symbol:         _ZN9rocsparseL29bsrmmnt_small_blockdim_kernelILj64ELj32ELj2EllffffEEv20rocsparse_direction_T3_S2_llNS_24const_host_device_scalarIT7_EEPKT2_PKS2_PKT4_PKT5_llS5_PT6_ll16rocsparse_order_21rocsparse_index_base_b.kd
    .uniform_work_group_size: 1
    .uses_dynamic_stack: false
    .vgpr_count:     32
    .vgpr_spill_count: 0
    .wavefront_size: 32
  - .args:
      - .offset:         0
        .size:           4
        .value_kind:     by_value
      - .offset:         8
        .size:           8
        .value_kind:     by_value
      - .offset:         16
        .size:           8
        .value_kind:     by_value
      - .offset:         24
        .size:           8
        .value_kind:     by_value
      - .offset:         32
        .size:           8
        .value_kind:     by_value
      - .offset:         40
        .size:           8
        .value_kind:     by_value
      - .actual_access:  read_only
        .address_space:  global
        .offset:         48
        .size:           8
        .value_kind:     global_buffer
      - .actual_access:  read_only
        .address_space:  global
        .offset:         56
        .size:           8
        .value_kind:     global_buffer
      - .actual_access:  read_only
        .address_space:  global
        .offset:         64
        .size:           8
        .value_kind:     global_buffer
      - .actual_access:  read_only
        .address_space:  global
        .offset:         72
        .size:           8
        .value_kind:     global_buffer
      - .offset:         80
        .size:           8
        .value_kind:     by_value
      - .offset:         88
        .size:           8
        .value_kind:     by_value
      - .offset:         96
        .size:           8
        .value_kind:     by_value
      - .address_space:  global
        .offset:         104
        .size:           8
        .value_kind:     global_buffer
      - .offset:         112
        .size:           8
        .value_kind:     by_value
      - .offset:         120
        .size:           8
        .value_kind:     by_value
      - .offset:         128
        .size:           4
        .value_kind:     by_value
      - .offset:         132
        .size:           4
        .value_kind:     by_value
      - .offset:         136
        .size:           1
        .value_kind:     by_value
      - .offset:         144
        .size:           4
        .value_kind:     hidden_block_count_x
      - .offset:         148
        .size:           4
        .value_kind:     hidden_block_count_y
      - .offset:         152
        .size:           4
        .value_kind:     hidden_block_count_z
      - .offset:         156
        .size:           2
        .value_kind:     hidden_group_size_x
      - .offset:         158
        .size:           2
        .value_kind:     hidden_group_size_y
      - .offset:         160
        .size:           2
        .value_kind:     hidden_group_size_z
      - .offset:         162
        .size:           2
        .value_kind:     hidden_remainder_x
      - .offset:         164
        .size:           2
        .value_kind:     hidden_remainder_y
      - .offset:         166
        .size:           2
        .value_kind:     hidden_remainder_z
      - .offset:         184
        .size:           8
        .value_kind:     hidden_global_offset_x
      - .offset:         192
        .size:           8
        .value_kind:     hidden_global_offset_y
      - .offset:         200
        .size:           8
        .value_kind:     hidden_global_offset_z
      - .offset:         208
        .size:           2
        .value_kind:     hidden_grid_dims
    .group_segment_fixed_size: 1280
    .kernarg_segment_align: 8
    .kernarg_segment_size: 400
    .language:       OpenCL C
    .language_version:
      - 2
      - 0
    .max_flat_workgroup_size: 64
    .name:           _ZN9rocsparseL29bsrmmnt_small_blockdim_kernelILj64ELj64ELj2EllffffEEv20rocsparse_direction_T3_S2_llNS_24const_host_device_scalarIT7_EEPKT2_PKS2_PKT4_PKT5_llS5_PT6_ll16rocsparse_order_21rocsparse_index_base_b
    .private_segment_fixed_size: 0
    .sgpr_count:     29
    .sgpr_spill_count: 0
    .symbol:         _ZN9rocsparseL29bsrmmnt_small_blockdim_kernelILj64ELj64ELj2EllffffEEv20rocsparse_direction_T3_S2_llNS_24const_host_device_scalarIT7_EEPKT2_PKS2_PKT4_PKT5_llS5_PT6_ll16rocsparse_order_21rocsparse_index_base_b.kd
    .uniform_work_group_size: 1
    .uses_dynamic_stack: false
    .vgpr_count:     30
    .vgpr_spill_count: 0
    .wavefront_size: 32
  - .args:
      - .offset:         0
        .size:           4
        .value_kind:     by_value
      - .offset:         4
        .size:           4
        .value_kind:     by_value
      - .offset:         8
        .size:           4
        .value_kind:     by_value
      - .offset:         16
        .size:           8
        .value_kind:     by_value
      - .offset:         24
        .size:           8
        .value_kind:     by_value
      - .offset:         32
        .size:           8
        .value_kind:     by_value
      - .actual_access:  read_only
        .address_space:  global
        .offset:         40
        .size:           8
        .value_kind:     global_buffer
      - .actual_access:  read_only
        .address_space:  global
        .offset:         48
        .size:           8
        .value_kind:     global_buffer
      - .actual_access:  read_only
        .address_space:  global
        .offset:         56
        .size:           8
        .value_kind:     global_buffer
      - .actual_access:  read_only
        .address_space:  global
        .offset:         64
        .size:           8
        .value_kind:     global_buffer
      - .offset:         72
        .size:           8
        .value_kind:     by_value
      - .offset:         80
        .size:           8
        .value_kind:     by_value
      - .offset:         88
        .size:           8
        .value_kind:     by_value
      - .address_space:  global
        .offset:         96
        .size:           8
        .value_kind:     global_buffer
      - .offset:         104
        .size:           8
        .value_kind:     by_value
      - .offset:         112
        .size:           8
        .value_kind:     by_value
      - .offset:         120
        .size:           4
        .value_kind:     by_value
      - .offset:         124
        .size:           4
        .value_kind:     by_value
      - .offset:         128
        .size:           1
        .value_kind:     by_value
      - .offset:         136
        .size:           4
        .value_kind:     hidden_block_count_x
      - .offset:         140
        .size:           4
        .value_kind:     hidden_block_count_y
      - .offset:         144
        .size:           4
        .value_kind:     hidden_block_count_z
      - .offset:         148
        .size:           2
        .value_kind:     hidden_group_size_x
      - .offset:         150
        .size:           2
        .value_kind:     hidden_group_size_y
      - .offset:         152
        .size:           2
        .value_kind:     hidden_group_size_z
      - .offset:         154
        .size:           2
        .value_kind:     hidden_remainder_x
      - .offset:         156
        .size:           2
        .value_kind:     hidden_remainder_y
      - .offset:         158
        .size:           2
        .value_kind:     hidden_remainder_z
      - .offset:         176
        .size:           8
        .value_kind:     hidden_global_offset_x
      - .offset:         184
        .size:           8
        .value_kind:     hidden_global_offset_y
      - .offset:         192
        .size:           8
        .value_kind:     hidden_global_offset_z
      - .offset:         200
        .size:           2
        .value_kind:     hidden_grid_dims
    .group_segment_fixed_size: 1792
    .kernarg_segment_align: 8
    .kernarg_segment_size: 392
    .language:       OpenCL C
    .language_version:
      - 2
      - 0
    .max_flat_workgroup_size: 64
    .name:           _ZN9rocsparseL29bsrmmnt_small_blockdim_kernelILj64ELj8ELj2EiiddddEEv20rocsparse_direction_T3_S2_llNS_24const_host_device_scalarIT7_EEPKT2_PKS2_PKT4_PKT5_llS5_PT6_ll16rocsparse_order_21rocsparse_index_base_b
    .private_segment_fixed_size: 0
    .sgpr_count:     25
    .sgpr_spill_count: 0
    .symbol:         _ZN9rocsparseL29bsrmmnt_small_blockdim_kernelILj64ELj8ELj2EiiddddEEv20rocsparse_direction_T3_S2_llNS_24const_host_device_scalarIT7_EEPKT2_PKS2_PKT4_PKT5_llS5_PT6_ll16rocsparse_order_21rocsparse_index_base_b.kd
    .uniform_work_group_size: 1
    .uses_dynamic_stack: false
    .vgpr_count:     42
    .vgpr_spill_count: 0
    .wavefront_size: 32
  - .args:
      - .offset:         0
        .size:           4
        .value_kind:     by_value
      - .offset:         4
        .size:           4
        .value_kind:     by_value
      - .offset:         8
        .size:           4
        .value_kind:     by_value
      - .offset:         16
        .size:           8
        .value_kind:     by_value
      - .offset:         24
        .size:           8
        .value_kind:     by_value
      - .offset:         32
        .size:           8
        .value_kind:     by_value
      - .actual_access:  read_only
        .address_space:  global
        .offset:         40
        .size:           8
        .value_kind:     global_buffer
      - .actual_access:  read_only
        .address_space:  global
        .offset:         48
        .size:           8
        .value_kind:     global_buffer
      - .actual_access:  read_only
        .address_space:  global
        .offset:         56
        .size:           8
        .value_kind:     global_buffer
      - .actual_access:  read_only
        .address_space:  global
        .offset:         64
        .size:           8
        .value_kind:     global_buffer
      - .offset:         72
        .size:           8
        .value_kind:     by_value
      - .offset:         80
        .size:           8
        .value_kind:     by_value
      - .offset:         88
        .size:           8
        .value_kind:     by_value
      - .address_space:  global
        .offset:         96
        .size:           8
        .value_kind:     global_buffer
      - .offset:         104
        .size:           8
        .value_kind:     by_value
      - .offset:         112
        .size:           8
        .value_kind:     by_value
      - .offset:         120
        .size:           4
        .value_kind:     by_value
      - .offset:         124
        .size:           4
        .value_kind:     by_value
      - .offset:         128
        .size:           1
        .value_kind:     by_value
      - .offset:         136
        .size:           4
        .value_kind:     hidden_block_count_x
      - .offset:         140
        .size:           4
        .value_kind:     hidden_block_count_y
      - .offset:         144
        .size:           4
        .value_kind:     hidden_block_count_z
      - .offset:         148
        .size:           2
        .value_kind:     hidden_group_size_x
      - .offset:         150
        .size:           2
        .value_kind:     hidden_group_size_y
      - .offset:         152
        .size:           2
        .value_kind:     hidden_group_size_z
      - .offset:         154
        .size:           2
        .value_kind:     hidden_remainder_x
      - .offset:         156
        .size:           2
        .value_kind:     hidden_remainder_y
      - .offset:         158
        .size:           2
        .value_kind:     hidden_remainder_z
      - .offset:         176
        .size:           8
        .value_kind:     hidden_global_offset_x
      - .offset:         184
        .size:           8
        .value_kind:     hidden_global_offset_y
      - .offset:         192
        .size:           8
        .value_kind:     hidden_global_offset_z
      - .offset:         200
        .size:           2
        .value_kind:     hidden_grid_dims
    .group_segment_fixed_size: 1792
    .kernarg_segment_align: 8
    .kernarg_segment_size: 392
    .language:       OpenCL C
    .language_version:
      - 2
      - 0
    .max_flat_workgroup_size: 64
    .name:           _ZN9rocsparseL29bsrmmnt_small_blockdim_kernelILj64ELj16ELj2EiiddddEEv20rocsparse_direction_T3_S2_llNS_24const_host_device_scalarIT7_EEPKT2_PKS2_PKT4_PKT5_llS5_PT6_ll16rocsparse_order_21rocsparse_index_base_b
    .private_segment_fixed_size: 0
    .sgpr_count:     25
    .sgpr_spill_count: 0
    .symbol:         _ZN9rocsparseL29bsrmmnt_small_blockdim_kernelILj64ELj16ELj2EiiddddEEv20rocsparse_direction_T3_S2_llNS_24const_host_device_scalarIT7_EEPKT2_PKS2_PKT4_PKT5_llS5_PT6_ll16rocsparse_order_21rocsparse_index_base_b.kd
    .uniform_work_group_size: 1
    .uses_dynamic_stack: false
    .vgpr_count:     42
    .vgpr_spill_count: 0
    .wavefront_size: 32
  - .args:
      - .offset:         0
        .size:           4
        .value_kind:     by_value
      - .offset:         4
        .size:           4
        .value_kind:     by_value
      - .offset:         8
        .size:           4
        .value_kind:     by_value
      - .offset:         16
        .size:           8
        .value_kind:     by_value
      - .offset:         24
        .size:           8
        .value_kind:     by_value
      - .offset:         32
        .size:           8
        .value_kind:     by_value
      - .actual_access:  read_only
        .address_space:  global
        .offset:         40
        .size:           8
        .value_kind:     global_buffer
      - .actual_access:  read_only
        .address_space:  global
        .offset:         48
        .size:           8
        .value_kind:     global_buffer
      - .actual_access:  read_only
        .address_space:  global
        .offset:         56
        .size:           8
        .value_kind:     global_buffer
      - .actual_access:  read_only
        .address_space:  global
        .offset:         64
        .size:           8
        .value_kind:     global_buffer
      - .offset:         72
        .size:           8
        .value_kind:     by_value
      - .offset:         80
        .size:           8
        .value_kind:     by_value
      - .offset:         88
        .size:           8
        .value_kind:     by_value
      - .address_space:  global
        .offset:         96
        .size:           8
        .value_kind:     global_buffer
      - .offset:         104
        .size:           8
        .value_kind:     by_value
      - .offset:         112
        .size:           8
        .value_kind:     by_value
      - .offset:         120
        .size:           4
        .value_kind:     by_value
      - .offset:         124
        .size:           4
        .value_kind:     by_value
      - .offset:         128
        .size:           1
        .value_kind:     by_value
      - .offset:         136
        .size:           4
        .value_kind:     hidden_block_count_x
      - .offset:         140
        .size:           4
        .value_kind:     hidden_block_count_y
      - .offset:         144
        .size:           4
        .value_kind:     hidden_block_count_z
      - .offset:         148
        .size:           2
        .value_kind:     hidden_group_size_x
      - .offset:         150
        .size:           2
        .value_kind:     hidden_group_size_y
      - .offset:         152
        .size:           2
        .value_kind:     hidden_group_size_z
      - .offset:         154
        .size:           2
        .value_kind:     hidden_remainder_x
      - .offset:         156
        .size:           2
        .value_kind:     hidden_remainder_y
      - .offset:         158
        .size:           2
        .value_kind:     hidden_remainder_z
      - .offset:         176
        .size:           8
        .value_kind:     hidden_global_offset_x
      - .offset:         184
        .size:           8
        .value_kind:     hidden_global_offset_y
      - .offset:         192
        .size:           8
        .value_kind:     hidden_global_offset_z
      - .offset:         200
        .size:           2
        .value_kind:     hidden_grid_dims
    .group_segment_fixed_size: 1792
    .kernarg_segment_align: 8
    .kernarg_segment_size: 392
    .language:       OpenCL C
    .language_version:
      - 2
      - 0
    .max_flat_workgroup_size: 64
    .name:           _ZN9rocsparseL29bsrmmnt_small_blockdim_kernelILj64ELj32ELj2EiiddddEEv20rocsparse_direction_T3_S2_llNS_24const_host_device_scalarIT7_EEPKT2_PKS2_PKT4_PKT5_llS5_PT6_ll16rocsparse_order_21rocsparse_index_base_b
    .private_segment_fixed_size: 0
    .sgpr_count:     25
    .sgpr_spill_count: 0
    .symbol:         _ZN9rocsparseL29bsrmmnt_small_blockdim_kernelILj64ELj32ELj2EiiddddEEv20rocsparse_direction_T3_S2_llNS_24const_host_device_scalarIT7_EEPKT2_PKS2_PKT4_PKT5_llS5_PT6_ll16rocsparse_order_21rocsparse_index_base_b.kd
    .uniform_work_group_size: 1
    .uses_dynamic_stack: false
    .vgpr_count:     42
    .vgpr_spill_count: 0
    .wavefront_size: 32
  - .args:
      - .offset:         0
        .size:           4
        .value_kind:     by_value
      - .offset:         4
        .size:           4
        .value_kind:     by_value
      - .offset:         8
        .size:           4
        .value_kind:     by_value
      - .offset:         16
        .size:           8
        .value_kind:     by_value
      - .offset:         24
        .size:           8
        .value_kind:     by_value
      - .offset:         32
        .size:           8
        .value_kind:     by_value
      - .actual_access:  read_only
        .address_space:  global
        .offset:         40
        .size:           8
        .value_kind:     global_buffer
      - .actual_access:  read_only
        .address_space:  global
        .offset:         48
        .size:           8
        .value_kind:     global_buffer
      - .actual_access:  read_only
        .address_space:  global
        .offset:         56
        .size:           8
        .value_kind:     global_buffer
      - .actual_access:  read_only
        .address_space:  global
        .offset:         64
        .size:           8
        .value_kind:     global_buffer
      - .offset:         72
        .size:           8
        .value_kind:     by_value
      - .offset:         80
        .size:           8
        .value_kind:     by_value
      - .offset:         88
        .size:           8
        .value_kind:     by_value
      - .address_space:  global
        .offset:         96
        .size:           8
        .value_kind:     global_buffer
      - .offset:         104
        .size:           8
        .value_kind:     by_value
      - .offset:         112
        .size:           8
        .value_kind:     by_value
      - .offset:         120
        .size:           4
        .value_kind:     by_value
      - .offset:         124
        .size:           4
        .value_kind:     by_value
      - .offset:         128
        .size:           1
        .value_kind:     by_value
      - .offset:         136
        .size:           4
        .value_kind:     hidden_block_count_x
      - .offset:         140
        .size:           4
        .value_kind:     hidden_block_count_y
      - .offset:         144
        .size:           4
        .value_kind:     hidden_block_count_z
      - .offset:         148
        .size:           2
        .value_kind:     hidden_group_size_x
      - .offset:         150
        .size:           2
        .value_kind:     hidden_group_size_y
      - .offset:         152
        .size:           2
        .value_kind:     hidden_group_size_z
      - .offset:         154
        .size:           2
        .value_kind:     hidden_remainder_x
      - .offset:         156
        .size:           2
        .value_kind:     hidden_remainder_y
      - .offset:         158
        .size:           2
        .value_kind:     hidden_remainder_z
      - .offset:         176
        .size:           8
        .value_kind:     hidden_global_offset_x
      - .offset:         184
        .size:           8
        .value_kind:     hidden_global_offset_y
      - .offset:         192
        .size:           8
        .value_kind:     hidden_global_offset_z
      - .offset:         200
        .size:           2
        .value_kind:     hidden_grid_dims
    .group_segment_fixed_size: 1792
    .kernarg_segment_align: 8
    .kernarg_segment_size: 392
    .language:       OpenCL C
    .language_version:
      - 2
      - 0
    .max_flat_workgroup_size: 64
    .name:           _ZN9rocsparseL29bsrmmnt_small_blockdim_kernelILj64ELj64ELj2EiiddddEEv20rocsparse_direction_T3_S2_llNS_24const_host_device_scalarIT7_EEPKT2_PKS2_PKT4_PKT5_llS5_PT6_ll16rocsparse_order_21rocsparse_index_base_b
    .private_segment_fixed_size: 0
    .sgpr_count:     25
    .sgpr_spill_count: 0
    .symbol:         _ZN9rocsparseL29bsrmmnt_small_blockdim_kernelILj64ELj64ELj2EiiddddEEv20rocsparse_direction_T3_S2_llNS_24const_host_device_scalarIT7_EEPKT2_PKS2_PKT4_PKT5_llS5_PT6_ll16rocsparse_order_21rocsparse_index_base_b.kd
    .uniform_work_group_size: 1
    .uses_dynamic_stack: false
    .vgpr_count:     40
    .vgpr_spill_count: 0
    .wavefront_size: 32
  - .args:
      - .offset:         0
        .size:           4
        .value_kind:     by_value
      - .offset:         4
        .size:           4
        .value_kind:     by_value
      - .offset:         8
        .size:           4
        .value_kind:     by_value
      - .offset:         16
        .size:           8
        .value_kind:     by_value
      - .offset:         24
        .size:           8
        .value_kind:     by_value
      - .offset:         32
        .size:           8
        .value_kind:     by_value
      - .actual_access:  read_only
        .address_space:  global
        .offset:         40
        .size:           8
        .value_kind:     global_buffer
      - .actual_access:  read_only
        .address_space:  global
        .offset:         48
        .size:           8
        .value_kind:     global_buffer
      - .actual_access:  read_only
        .address_space:  global
        .offset:         56
        .size:           8
        .value_kind:     global_buffer
      - .actual_access:  read_only
        .address_space:  global
        .offset:         64
        .size:           8
        .value_kind:     global_buffer
      - .offset:         72
        .size:           8
        .value_kind:     by_value
      - .offset:         80
        .size:           8
        .value_kind:     by_value
      - .offset:         88
        .size:           8
        .value_kind:     by_value
      - .address_space:  global
        .offset:         96
        .size:           8
        .value_kind:     global_buffer
      - .offset:         104
        .size:           8
        .value_kind:     by_value
      - .offset:         112
        .size:           8
        .value_kind:     by_value
      - .offset:         120
        .size:           4
        .value_kind:     by_value
      - .offset:         124
        .size:           4
        .value_kind:     by_value
      - .offset:         128
        .size:           1
        .value_kind:     by_value
      - .offset:         136
        .size:           4
        .value_kind:     hidden_block_count_x
      - .offset:         140
        .size:           4
        .value_kind:     hidden_block_count_y
      - .offset:         144
        .size:           4
        .value_kind:     hidden_block_count_z
      - .offset:         148
        .size:           2
        .value_kind:     hidden_group_size_x
      - .offset:         150
        .size:           2
        .value_kind:     hidden_group_size_y
      - .offset:         152
        .size:           2
        .value_kind:     hidden_group_size_z
      - .offset:         154
        .size:           2
        .value_kind:     hidden_remainder_x
      - .offset:         156
        .size:           2
        .value_kind:     hidden_remainder_y
      - .offset:         158
        .size:           2
        .value_kind:     hidden_remainder_z
      - .offset:         176
        .size:           8
        .value_kind:     hidden_global_offset_x
      - .offset:         184
        .size:           8
        .value_kind:     hidden_global_offset_y
      - .offset:         192
        .size:           8
        .value_kind:     hidden_global_offset_z
      - .offset:         200
        .size:           2
        .value_kind:     hidden_grid_dims
    .group_segment_fixed_size: 1792
    .kernarg_segment_align: 8
    .kernarg_segment_size: 392
    .language:       OpenCL C
    .language_version:
      - 2
      - 0
    .max_flat_workgroup_size: 64
    .name:           _ZN9rocsparseL29bsrmmnt_small_blockdim_kernelILj64ELj8ELj2EliddddEEv20rocsparse_direction_T3_S2_llNS_24const_host_device_scalarIT7_EEPKT2_PKS2_PKT4_PKT5_llS5_PT6_ll16rocsparse_order_21rocsparse_index_base_b
    .private_segment_fixed_size: 0
    .sgpr_count:     25
    .sgpr_spill_count: 0
    .symbol:         _ZN9rocsparseL29bsrmmnt_small_blockdim_kernelILj64ELj8ELj2EliddddEEv20rocsparse_direction_T3_S2_llNS_24const_host_device_scalarIT7_EEPKT2_PKS2_PKT4_PKT5_llS5_PT6_ll16rocsparse_order_21rocsparse_index_base_b.kd
    .uniform_work_group_size: 1
    .uses_dynamic_stack: false
    .vgpr_count:     46
    .vgpr_spill_count: 0
    .wavefront_size: 32
  - .args:
      - .offset:         0
        .size:           4
        .value_kind:     by_value
      - .offset:         4
        .size:           4
        .value_kind:     by_value
      - .offset:         8
        .size:           4
        .value_kind:     by_value
      - .offset:         16
        .size:           8
        .value_kind:     by_value
      - .offset:         24
        .size:           8
        .value_kind:     by_value
      - .offset:         32
        .size:           8
        .value_kind:     by_value
      - .actual_access:  read_only
        .address_space:  global
        .offset:         40
        .size:           8
        .value_kind:     global_buffer
      - .actual_access:  read_only
        .address_space:  global
        .offset:         48
        .size:           8
        .value_kind:     global_buffer
      - .actual_access:  read_only
        .address_space:  global
        .offset:         56
        .size:           8
        .value_kind:     global_buffer
      - .actual_access:  read_only
        .address_space:  global
        .offset:         64
        .size:           8
        .value_kind:     global_buffer
      - .offset:         72
        .size:           8
        .value_kind:     by_value
      - .offset:         80
        .size:           8
        .value_kind:     by_value
      - .offset:         88
        .size:           8
        .value_kind:     by_value
      - .address_space:  global
        .offset:         96
        .size:           8
        .value_kind:     global_buffer
      - .offset:         104
        .size:           8
        .value_kind:     by_value
      - .offset:         112
        .size:           8
        .value_kind:     by_value
      - .offset:         120
        .size:           4
        .value_kind:     by_value
      - .offset:         124
        .size:           4
        .value_kind:     by_value
      - .offset:         128
        .size:           1
        .value_kind:     by_value
      - .offset:         136
        .size:           4
        .value_kind:     hidden_block_count_x
      - .offset:         140
        .size:           4
        .value_kind:     hidden_block_count_y
      - .offset:         144
        .size:           4
        .value_kind:     hidden_block_count_z
      - .offset:         148
        .size:           2
        .value_kind:     hidden_group_size_x
      - .offset:         150
        .size:           2
        .value_kind:     hidden_group_size_y
      - .offset:         152
        .size:           2
        .value_kind:     hidden_group_size_z
      - .offset:         154
        .size:           2
        .value_kind:     hidden_remainder_x
      - .offset:         156
        .size:           2
        .value_kind:     hidden_remainder_y
      - .offset:         158
        .size:           2
        .value_kind:     hidden_remainder_z
      - .offset:         176
        .size:           8
        .value_kind:     hidden_global_offset_x
      - .offset:         184
        .size:           8
        .value_kind:     hidden_global_offset_y
      - .offset:         192
        .size:           8
        .value_kind:     hidden_global_offset_z
      - .offset:         200
        .size:           2
        .value_kind:     hidden_grid_dims
    .group_segment_fixed_size: 1792
    .kernarg_segment_align: 8
    .kernarg_segment_size: 392
    .language:       OpenCL C
    .language_version:
      - 2
      - 0
    .max_flat_workgroup_size: 64
    .name:           _ZN9rocsparseL29bsrmmnt_small_blockdim_kernelILj64ELj16ELj2EliddddEEv20rocsparse_direction_T3_S2_llNS_24const_host_device_scalarIT7_EEPKT2_PKS2_PKT4_PKT5_llS5_PT6_ll16rocsparse_order_21rocsparse_index_base_b
    .private_segment_fixed_size: 0
    .sgpr_count:     25
    .sgpr_spill_count: 0
    .symbol:         _ZN9rocsparseL29bsrmmnt_small_blockdim_kernelILj64ELj16ELj2EliddddEEv20rocsparse_direction_T3_S2_llNS_24const_host_device_scalarIT7_EEPKT2_PKS2_PKT4_PKT5_llS5_PT6_ll16rocsparse_order_21rocsparse_index_base_b.kd
    .uniform_work_group_size: 1
    .uses_dynamic_stack: false
    .vgpr_count:     46
    .vgpr_spill_count: 0
    .wavefront_size: 32
  - .args:
      - .offset:         0
        .size:           4
        .value_kind:     by_value
      - .offset:         4
        .size:           4
        .value_kind:     by_value
      - .offset:         8
        .size:           4
        .value_kind:     by_value
      - .offset:         16
        .size:           8
        .value_kind:     by_value
      - .offset:         24
        .size:           8
        .value_kind:     by_value
      - .offset:         32
        .size:           8
        .value_kind:     by_value
      - .actual_access:  read_only
        .address_space:  global
        .offset:         40
        .size:           8
        .value_kind:     global_buffer
      - .actual_access:  read_only
        .address_space:  global
        .offset:         48
        .size:           8
        .value_kind:     global_buffer
      - .actual_access:  read_only
        .address_space:  global
        .offset:         56
        .size:           8
        .value_kind:     global_buffer
      - .actual_access:  read_only
        .address_space:  global
        .offset:         64
        .size:           8
        .value_kind:     global_buffer
      - .offset:         72
        .size:           8
        .value_kind:     by_value
      - .offset:         80
        .size:           8
        .value_kind:     by_value
      - .offset:         88
        .size:           8
        .value_kind:     by_value
      - .address_space:  global
        .offset:         96
        .size:           8
        .value_kind:     global_buffer
      - .offset:         104
        .size:           8
        .value_kind:     by_value
      - .offset:         112
        .size:           8
        .value_kind:     by_value
      - .offset:         120
        .size:           4
        .value_kind:     by_value
      - .offset:         124
        .size:           4
        .value_kind:     by_value
      - .offset:         128
        .size:           1
        .value_kind:     by_value
      - .offset:         136
        .size:           4
        .value_kind:     hidden_block_count_x
      - .offset:         140
        .size:           4
        .value_kind:     hidden_block_count_y
      - .offset:         144
        .size:           4
        .value_kind:     hidden_block_count_z
      - .offset:         148
        .size:           2
        .value_kind:     hidden_group_size_x
      - .offset:         150
        .size:           2
        .value_kind:     hidden_group_size_y
      - .offset:         152
        .size:           2
        .value_kind:     hidden_group_size_z
      - .offset:         154
        .size:           2
        .value_kind:     hidden_remainder_x
      - .offset:         156
        .size:           2
        .value_kind:     hidden_remainder_y
      - .offset:         158
        .size:           2
        .value_kind:     hidden_remainder_z
      - .offset:         176
        .size:           8
        .value_kind:     hidden_global_offset_x
      - .offset:         184
        .size:           8
        .value_kind:     hidden_global_offset_y
      - .offset:         192
        .size:           8
        .value_kind:     hidden_global_offset_z
      - .offset:         200
        .size:           2
        .value_kind:     hidden_grid_dims
    .group_segment_fixed_size: 1792
    .kernarg_segment_align: 8
    .kernarg_segment_size: 392
    .language:       OpenCL C
    .language_version:
      - 2
      - 0
    .max_flat_workgroup_size: 64
    .name:           _ZN9rocsparseL29bsrmmnt_small_blockdim_kernelILj64ELj32ELj2EliddddEEv20rocsparse_direction_T3_S2_llNS_24const_host_device_scalarIT7_EEPKT2_PKS2_PKT4_PKT5_llS5_PT6_ll16rocsparse_order_21rocsparse_index_base_b
    .private_segment_fixed_size: 0
    .sgpr_count:     25
    .sgpr_spill_count: 0
    .symbol:         _ZN9rocsparseL29bsrmmnt_small_blockdim_kernelILj64ELj32ELj2EliddddEEv20rocsparse_direction_T3_S2_llNS_24const_host_device_scalarIT7_EEPKT2_PKS2_PKT4_PKT5_llS5_PT6_ll16rocsparse_order_21rocsparse_index_base_b.kd
    .uniform_work_group_size: 1
    .uses_dynamic_stack: false
    .vgpr_count:     46
    .vgpr_spill_count: 0
    .wavefront_size: 32
  - .args:
      - .offset:         0
        .size:           4
        .value_kind:     by_value
      - .offset:         4
        .size:           4
        .value_kind:     by_value
      - .offset:         8
        .size:           4
        .value_kind:     by_value
      - .offset:         16
        .size:           8
        .value_kind:     by_value
      - .offset:         24
        .size:           8
        .value_kind:     by_value
      - .offset:         32
        .size:           8
        .value_kind:     by_value
      - .actual_access:  read_only
        .address_space:  global
        .offset:         40
        .size:           8
        .value_kind:     global_buffer
      - .actual_access:  read_only
        .address_space:  global
        .offset:         48
        .size:           8
        .value_kind:     global_buffer
      - .actual_access:  read_only
        .address_space:  global
        .offset:         56
        .size:           8
        .value_kind:     global_buffer
      - .actual_access:  read_only
        .address_space:  global
        .offset:         64
        .size:           8
        .value_kind:     global_buffer
      - .offset:         72
        .size:           8
        .value_kind:     by_value
      - .offset:         80
        .size:           8
        .value_kind:     by_value
      - .offset:         88
        .size:           8
        .value_kind:     by_value
      - .address_space:  global
        .offset:         96
        .size:           8
        .value_kind:     global_buffer
      - .offset:         104
        .size:           8
        .value_kind:     by_value
      - .offset:         112
        .size:           8
        .value_kind:     by_value
      - .offset:         120
        .size:           4
        .value_kind:     by_value
      - .offset:         124
        .size:           4
        .value_kind:     by_value
      - .offset:         128
        .size:           1
        .value_kind:     by_value
      - .offset:         136
        .size:           4
        .value_kind:     hidden_block_count_x
      - .offset:         140
        .size:           4
        .value_kind:     hidden_block_count_y
      - .offset:         144
        .size:           4
        .value_kind:     hidden_block_count_z
      - .offset:         148
        .size:           2
        .value_kind:     hidden_group_size_x
      - .offset:         150
        .size:           2
        .value_kind:     hidden_group_size_y
      - .offset:         152
        .size:           2
        .value_kind:     hidden_group_size_z
      - .offset:         154
        .size:           2
        .value_kind:     hidden_remainder_x
      - .offset:         156
        .size:           2
        .value_kind:     hidden_remainder_y
      - .offset:         158
        .size:           2
        .value_kind:     hidden_remainder_z
      - .offset:         176
        .size:           8
        .value_kind:     hidden_global_offset_x
      - .offset:         184
        .size:           8
        .value_kind:     hidden_global_offset_y
      - .offset:         192
        .size:           8
        .value_kind:     hidden_global_offset_z
      - .offset:         200
        .size:           2
        .value_kind:     hidden_grid_dims
    .group_segment_fixed_size: 1792
    .kernarg_segment_align: 8
    .kernarg_segment_size: 392
    .language:       OpenCL C
    .language_version:
      - 2
      - 0
    .max_flat_workgroup_size: 64
    .name:           _ZN9rocsparseL29bsrmmnt_small_blockdim_kernelILj64ELj64ELj2EliddddEEv20rocsparse_direction_T3_S2_llNS_24const_host_device_scalarIT7_EEPKT2_PKS2_PKT4_PKT5_llS5_PT6_ll16rocsparse_order_21rocsparse_index_base_b
    .private_segment_fixed_size: 0
    .sgpr_count:     25
    .sgpr_spill_count: 0
    .symbol:         _ZN9rocsparseL29bsrmmnt_small_blockdim_kernelILj64ELj64ELj2EliddddEEv20rocsparse_direction_T3_S2_llNS_24const_host_device_scalarIT7_EEPKT2_PKS2_PKT4_PKT5_llS5_PT6_ll16rocsparse_order_21rocsparse_index_base_b.kd
    .uniform_work_group_size: 1
    .uses_dynamic_stack: false
    .vgpr_count:     44
    .vgpr_spill_count: 0
    .wavefront_size: 32
  - .args:
      - .offset:         0
        .size:           4
        .value_kind:     by_value
      - .offset:         8
        .size:           8
        .value_kind:     by_value
      - .offset:         16
        .size:           8
        .value_kind:     by_value
      - .offset:         24
        .size:           8
        .value_kind:     by_value
      - .offset:         32
        .size:           8
        .value_kind:     by_value
      - .offset:         40
        .size:           8
        .value_kind:     by_value
      - .actual_access:  read_only
        .address_space:  global
        .offset:         48
        .size:           8
        .value_kind:     global_buffer
      - .actual_access:  read_only
        .address_space:  global
        .offset:         56
        .size:           8
        .value_kind:     global_buffer
      - .actual_access:  read_only
        .address_space:  global
        .offset:         64
        .size:           8
        .value_kind:     global_buffer
      - .actual_access:  read_only
        .address_space:  global
        .offset:         72
        .size:           8
        .value_kind:     global_buffer
      - .offset:         80
        .size:           8
        .value_kind:     by_value
      - .offset:         88
        .size:           8
        .value_kind:     by_value
      - .offset:         96
        .size:           8
        .value_kind:     by_value
      - .address_space:  global
        .offset:         104
        .size:           8
        .value_kind:     global_buffer
      - .offset:         112
        .size:           8
        .value_kind:     by_value
      - .offset:         120
        .size:           8
        .value_kind:     by_value
      - .offset:         128
        .size:           4
        .value_kind:     by_value
      - .offset:         132
        .size:           4
        .value_kind:     by_value
      - .offset:         136
        .size:           1
        .value_kind:     by_value
      - .offset:         144
        .size:           4
        .value_kind:     hidden_block_count_x
      - .offset:         148
        .size:           4
        .value_kind:     hidden_block_count_y
      - .offset:         152
        .size:           4
        .value_kind:     hidden_block_count_z
      - .offset:         156
        .size:           2
        .value_kind:     hidden_group_size_x
      - .offset:         158
        .size:           2
        .value_kind:     hidden_group_size_y
      - .offset:         160
        .size:           2
        .value_kind:     hidden_group_size_z
      - .offset:         162
        .size:           2
        .value_kind:     hidden_remainder_x
      - .offset:         164
        .size:           2
        .value_kind:     hidden_remainder_y
      - .offset:         166
        .size:           2
        .value_kind:     hidden_remainder_z
      - .offset:         184
        .size:           8
        .value_kind:     hidden_global_offset_x
      - .offset:         192
        .size:           8
        .value_kind:     hidden_global_offset_y
      - .offset:         200
        .size:           8
        .value_kind:     hidden_global_offset_z
      - .offset:         208
        .size:           2
        .value_kind:     hidden_grid_dims
    .group_segment_fixed_size: 2048
    .kernarg_segment_align: 8
    .kernarg_segment_size: 400
    .language:       OpenCL C
    .language_version:
      - 2
      - 0
    .max_flat_workgroup_size: 64
    .name:           _ZN9rocsparseL29bsrmmnt_small_blockdim_kernelILj64ELj8ELj2EllddddEEv20rocsparse_direction_T3_S2_llNS_24const_host_device_scalarIT7_EEPKT2_PKS2_PKT4_PKT5_llS5_PT6_ll16rocsparse_order_21rocsparse_index_base_b
    .private_segment_fixed_size: 0
    .sgpr_count:     27
    .sgpr_spill_count: 0
    .symbol:         _ZN9rocsparseL29bsrmmnt_small_blockdim_kernelILj64ELj8ELj2EllddddEEv20rocsparse_direction_T3_S2_llNS_24const_host_device_scalarIT7_EEPKT2_PKS2_PKT4_PKT5_llS5_PT6_ll16rocsparse_order_21rocsparse_index_base_b.kd
    .uniform_work_group_size: 1
    .uses_dynamic_stack: false
    .vgpr_count:     46
    .vgpr_spill_count: 0
    .wavefront_size: 32
  - .args:
      - .offset:         0
        .size:           4
        .value_kind:     by_value
      - .offset:         8
        .size:           8
        .value_kind:     by_value
      - .offset:         16
        .size:           8
        .value_kind:     by_value
      - .offset:         24
        .size:           8
        .value_kind:     by_value
      - .offset:         32
        .size:           8
        .value_kind:     by_value
      - .offset:         40
        .size:           8
        .value_kind:     by_value
      - .actual_access:  read_only
        .address_space:  global
        .offset:         48
        .size:           8
        .value_kind:     global_buffer
      - .actual_access:  read_only
        .address_space:  global
        .offset:         56
        .size:           8
        .value_kind:     global_buffer
      - .actual_access:  read_only
        .address_space:  global
        .offset:         64
        .size:           8
        .value_kind:     global_buffer
      - .actual_access:  read_only
        .address_space:  global
        .offset:         72
        .size:           8
        .value_kind:     global_buffer
      - .offset:         80
        .size:           8
        .value_kind:     by_value
      - .offset:         88
        .size:           8
        .value_kind:     by_value
      - .offset:         96
        .size:           8
        .value_kind:     by_value
      - .address_space:  global
        .offset:         104
        .size:           8
        .value_kind:     global_buffer
      - .offset:         112
        .size:           8
        .value_kind:     by_value
      - .offset:         120
        .size:           8
        .value_kind:     by_value
      - .offset:         128
        .size:           4
        .value_kind:     by_value
      - .offset:         132
        .size:           4
        .value_kind:     by_value
      - .offset:         136
        .size:           1
        .value_kind:     by_value
      - .offset:         144
        .size:           4
        .value_kind:     hidden_block_count_x
      - .offset:         148
        .size:           4
        .value_kind:     hidden_block_count_y
      - .offset:         152
        .size:           4
        .value_kind:     hidden_block_count_z
      - .offset:         156
        .size:           2
        .value_kind:     hidden_group_size_x
      - .offset:         158
        .size:           2
        .value_kind:     hidden_group_size_y
      - .offset:         160
        .size:           2
        .value_kind:     hidden_group_size_z
      - .offset:         162
        .size:           2
        .value_kind:     hidden_remainder_x
      - .offset:         164
        .size:           2
        .value_kind:     hidden_remainder_y
      - .offset:         166
        .size:           2
        .value_kind:     hidden_remainder_z
      - .offset:         184
        .size:           8
        .value_kind:     hidden_global_offset_x
      - .offset:         192
        .size:           8
        .value_kind:     hidden_global_offset_y
      - .offset:         200
        .size:           8
        .value_kind:     hidden_global_offset_z
      - .offset:         208
        .size:           2
        .value_kind:     hidden_grid_dims
    .group_segment_fixed_size: 2048
    .kernarg_segment_align: 8
    .kernarg_segment_size: 400
    .language:       OpenCL C
    .language_version:
      - 2
      - 0
    .max_flat_workgroup_size: 64
    .name:           _ZN9rocsparseL29bsrmmnt_small_blockdim_kernelILj64ELj16ELj2EllddddEEv20rocsparse_direction_T3_S2_llNS_24const_host_device_scalarIT7_EEPKT2_PKS2_PKT4_PKT5_llS5_PT6_ll16rocsparse_order_21rocsparse_index_base_b
    .private_segment_fixed_size: 0
    .sgpr_count:     27
    .sgpr_spill_count: 0
    .symbol:         _ZN9rocsparseL29bsrmmnt_small_blockdim_kernelILj64ELj16ELj2EllddddEEv20rocsparse_direction_T3_S2_llNS_24const_host_device_scalarIT7_EEPKT2_PKS2_PKT4_PKT5_llS5_PT6_ll16rocsparse_order_21rocsparse_index_base_b.kd
    .uniform_work_group_size: 1
    .uses_dynamic_stack: false
    .vgpr_count:     46
    .vgpr_spill_count: 0
    .wavefront_size: 32
  - .args:
      - .offset:         0
        .size:           4
        .value_kind:     by_value
      - .offset:         8
        .size:           8
        .value_kind:     by_value
      - .offset:         16
        .size:           8
        .value_kind:     by_value
      - .offset:         24
        .size:           8
        .value_kind:     by_value
      - .offset:         32
        .size:           8
        .value_kind:     by_value
      - .offset:         40
        .size:           8
        .value_kind:     by_value
      - .actual_access:  read_only
        .address_space:  global
        .offset:         48
        .size:           8
        .value_kind:     global_buffer
      - .actual_access:  read_only
        .address_space:  global
        .offset:         56
        .size:           8
        .value_kind:     global_buffer
      - .actual_access:  read_only
        .address_space:  global
        .offset:         64
        .size:           8
        .value_kind:     global_buffer
      - .actual_access:  read_only
        .address_space:  global
        .offset:         72
        .size:           8
        .value_kind:     global_buffer
      - .offset:         80
        .size:           8
        .value_kind:     by_value
      - .offset:         88
        .size:           8
        .value_kind:     by_value
      - .offset:         96
        .size:           8
        .value_kind:     by_value
      - .address_space:  global
        .offset:         104
        .size:           8
        .value_kind:     global_buffer
      - .offset:         112
        .size:           8
        .value_kind:     by_value
      - .offset:         120
        .size:           8
        .value_kind:     by_value
      - .offset:         128
        .size:           4
        .value_kind:     by_value
      - .offset:         132
        .size:           4
        .value_kind:     by_value
      - .offset:         136
        .size:           1
        .value_kind:     by_value
      - .offset:         144
        .size:           4
        .value_kind:     hidden_block_count_x
      - .offset:         148
        .size:           4
        .value_kind:     hidden_block_count_y
      - .offset:         152
        .size:           4
        .value_kind:     hidden_block_count_z
      - .offset:         156
        .size:           2
        .value_kind:     hidden_group_size_x
      - .offset:         158
        .size:           2
        .value_kind:     hidden_group_size_y
      - .offset:         160
        .size:           2
        .value_kind:     hidden_group_size_z
      - .offset:         162
        .size:           2
        .value_kind:     hidden_remainder_x
      - .offset:         164
        .size:           2
        .value_kind:     hidden_remainder_y
      - .offset:         166
        .size:           2
        .value_kind:     hidden_remainder_z
      - .offset:         184
        .size:           8
        .value_kind:     hidden_global_offset_x
      - .offset:         192
        .size:           8
        .value_kind:     hidden_global_offset_y
      - .offset:         200
        .size:           8
        .value_kind:     hidden_global_offset_z
      - .offset:         208
        .size:           2
        .value_kind:     hidden_grid_dims
    .group_segment_fixed_size: 2048
    .kernarg_segment_align: 8
    .kernarg_segment_size: 400
    .language:       OpenCL C
    .language_version:
      - 2
      - 0
    .max_flat_workgroup_size: 64
    .name:           _ZN9rocsparseL29bsrmmnt_small_blockdim_kernelILj64ELj32ELj2EllddddEEv20rocsparse_direction_T3_S2_llNS_24const_host_device_scalarIT7_EEPKT2_PKS2_PKT4_PKT5_llS5_PT6_ll16rocsparse_order_21rocsparse_index_base_b
    .private_segment_fixed_size: 0
    .sgpr_count:     27
    .sgpr_spill_count: 0
    .symbol:         _ZN9rocsparseL29bsrmmnt_small_blockdim_kernelILj64ELj32ELj2EllddddEEv20rocsparse_direction_T3_S2_llNS_24const_host_device_scalarIT7_EEPKT2_PKS2_PKT4_PKT5_llS5_PT6_ll16rocsparse_order_21rocsparse_index_base_b.kd
    .uniform_work_group_size: 1
    .uses_dynamic_stack: false
    .vgpr_count:     46
    .vgpr_spill_count: 0
    .wavefront_size: 32
  - .args:
      - .offset:         0
        .size:           4
        .value_kind:     by_value
      - .offset:         8
        .size:           8
        .value_kind:     by_value
      - .offset:         16
        .size:           8
        .value_kind:     by_value
      - .offset:         24
        .size:           8
        .value_kind:     by_value
      - .offset:         32
        .size:           8
        .value_kind:     by_value
      - .offset:         40
        .size:           8
        .value_kind:     by_value
      - .actual_access:  read_only
        .address_space:  global
        .offset:         48
        .size:           8
        .value_kind:     global_buffer
      - .actual_access:  read_only
        .address_space:  global
        .offset:         56
        .size:           8
        .value_kind:     global_buffer
      - .actual_access:  read_only
        .address_space:  global
        .offset:         64
        .size:           8
        .value_kind:     global_buffer
      - .actual_access:  read_only
        .address_space:  global
        .offset:         72
        .size:           8
        .value_kind:     global_buffer
      - .offset:         80
        .size:           8
        .value_kind:     by_value
      - .offset:         88
        .size:           8
        .value_kind:     by_value
      - .offset:         96
        .size:           8
        .value_kind:     by_value
      - .address_space:  global
        .offset:         104
        .size:           8
        .value_kind:     global_buffer
      - .offset:         112
        .size:           8
        .value_kind:     by_value
      - .offset:         120
        .size:           8
        .value_kind:     by_value
      - .offset:         128
        .size:           4
        .value_kind:     by_value
      - .offset:         132
        .size:           4
        .value_kind:     by_value
      - .offset:         136
        .size:           1
        .value_kind:     by_value
      - .offset:         144
        .size:           4
        .value_kind:     hidden_block_count_x
      - .offset:         148
        .size:           4
        .value_kind:     hidden_block_count_y
      - .offset:         152
        .size:           4
        .value_kind:     hidden_block_count_z
      - .offset:         156
        .size:           2
        .value_kind:     hidden_group_size_x
      - .offset:         158
        .size:           2
        .value_kind:     hidden_group_size_y
      - .offset:         160
        .size:           2
        .value_kind:     hidden_group_size_z
      - .offset:         162
        .size:           2
        .value_kind:     hidden_remainder_x
      - .offset:         164
        .size:           2
        .value_kind:     hidden_remainder_y
      - .offset:         166
        .size:           2
        .value_kind:     hidden_remainder_z
      - .offset:         184
        .size:           8
        .value_kind:     hidden_global_offset_x
      - .offset:         192
        .size:           8
        .value_kind:     hidden_global_offset_y
      - .offset:         200
        .size:           8
        .value_kind:     hidden_global_offset_z
      - .offset:         208
        .size:           2
        .value_kind:     hidden_grid_dims
    .group_segment_fixed_size: 2048
    .kernarg_segment_align: 8
    .kernarg_segment_size: 400
    .language:       OpenCL C
    .language_version:
      - 2
      - 0
    .max_flat_workgroup_size: 64
    .name:           _ZN9rocsparseL29bsrmmnt_small_blockdim_kernelILj64ELj64ELj2EllddddEEv20rocsparse_direction_T3_S2_llNS_24const_host_device_scalarIT7_EEPKT2_PKS2_PKT4_PKT5_llS5_PT6_ll16rocsparse_order_21rocsparse_index_base_b
    .private_segment_fixed_size: 0
    .sgpr_count:     27
    .sgpr_spill_count: 0
    .symbol:         _ZN9rocsparseL29bsrmmnt_small_blockdim_kernelILj64ELj64ELj2EllddddEEv20rocsparse_direction_T3_S2_llNS_24const_host_device_scalarIT7_EEPKT2_PKS2_PKT4_PKT5_llS5_PT6_ll16rocsparse_order_21rocsparse_index_base_b.kd
    .uniform_work_group_size: 1
    .uses_dynamic_stack: false
    .vgpr_count:     44
    .vgpr_spill_count: 0
    .wavefront_size: 32
  - .args:
      - .offset:         0
        .size:           4
        .value_kind:     by_value
      - .offset:         4
        .size:           4
        .value_kind:     by_value
      - .offset:         8
        .size:           4
        .value_kind:     by_value
      - .offset:         16
        .size:           8
        .value_kind:     by_value
      - .offset:         24
        .size:           8
        .value_kind:     by_value
      - .offset:         32
        .size:           8
        .value_kind:     by_value
      - .actual_access:  read_only
        .address_space:  global
        .offset:         40
        .size:           8
        .value_kind:     global_buffer
      - .actual_access:  read_only
        .address_space:  global
        .offset:         48
        .size:           8
        .value_kind:     global_buffer
      - .actual_access:  read_only
        .address_space:  global
        .offset:         56
        .size:           8
        .value_kind:     global_buffer
      - .actual_access:  read_only
        .address_space:  global
        .offset:         64
        .size:           8
        .value_kind:     global_buffer
      - .offset:         72
        .size:           8
        .value_kind:     by_value
      - .offset:         80
        .size:           8
        .value_kind:     by_value
      - .offset:         88
        .size:           8
        .value_kind:     by_value
      - .address_space:  global
        .offset:         96
        .size:           8
        .value_kind:     global_buffer
      - .offset:         104
        .size:           8
        .value_kind:     by_value
      - .offset:         112
        .size:           8
        .value_kind:     by_value
      - .offset:         120
        .size:           4
        .value_kind:     by_value
      - .offset:         124
        .size:           4
        .value_kind:     by_value
      - .offset:         128
        .size:           1
        .value_kind:     by_value
      - .offset:         136
        .size:           4
        .value_kind:     hidden_block_count_x
      - .offset:         140
        .size:           4
        .value_kind:     hidden_block_count_y
      - .offset:         144
        .size:           4
        .value_kind:     hidden_block_count_z
      - .offset:         148
        .size:           2
        .value_kind:     hidden_group_size_x
      - .offset:         150
        .size:           2
        .value_kind:     hidden_group_size_y
      - .offset:         152
        .size:           2
        .value_kind:     hidden_group_size_z
      - .offset:         154
        .size:           2
        .value_kind:     hidden_remainder_x
      - .offset:         156
        .size:           2
        .value_kind:     hidden_remainder_y
      - .offset:         158
        .size:           2
        .value_kind:     hidden_remainder_z
      - .offset:         176
        .size:           8
        .value_kind:     hidden_global_offset_x
      - .offset:         184
        .size:           8
        .value_kind:     hidden_global_offset_y
      - .offset:         192
        .size:           8
        .value_kind:     hidden_global_offset_z
      - .offset:         200
        .size:           2
        .value_kind:     hidden_grid_dims
    .group_segment_fixed_size: 1792
    .kernarg_segment_align: 8
    .kernarg_segment_size: 392
    .language:       OpenCL C
    .language_version:
      - 2
      - 0
    .max_flat_workgroup_size: 64
    .name:           _ZN9rocsparseL29bsrmmnt_small_blockdim_kernelILj64ELj8ELj2Eii21rocsparse_complex_numIfES2_S2_S2_EEv20rocsparse_direction_T3_S4_llNS_24const_host_device_scalarIT7_EEPKT2_PKS4_PKT4_PKT5_llS7_PT6_ll16rocsparse_order_21rocsparse_index_base_b
    .private_segment_fixed_size: 0
    .sgpr_count:     25
    .sgpr_spill_count: 0
    .symbol:         _ZN9rocsparseL29bsrmmnt_small_blockdim_kernelILj64ELj8ELj2Eii21rocsparse_complex_numIfES2_S2_S2_EEv20rocsparse_direction_T3_S4_llNS_24const_host_device_scalarIT7_EEPKT2_PKS4_PKT4_PKT5_llS7_PT6_ll16rocsparse_order_21rocsparse_index_base_b.kd
    .uniform_work_group_size: 1
    .uses_dynamic_stack: false
    .vgpr_count:     46
    .vgpr_spill_count: 0
    .wavefront_size: 32
  - .args:
      - .offset:         0
        .size:           4
        .value_kind:     by_value
      - .offset:         4
        .size:           4
        .value_kind:     by_value
      - .offset:         8
        .size:           4
        .value_kind:     by_value
      - .offset:         16
        .size:           8
        .value_kind:     by_value
      - .offset:         24
        .size:           8
        .value_kind:     by_value
      - .offset:         32
        .size:           8
        .value_kind:     by_value
      - .actual_access:  read_only
        .address_space:  global
        .offset:         40
        .size:           8
        .value_kind:     global_buffer
      - .actual_access:  read_only
        .address_space:  global
        .offset:         48
        .size:           8
        .value_kind:     global_buffer
      - .actual_access:  read_only
        .address_space:  global
        .offset:         56
        .size:           8
        .value_kind:     global_buffer
      - .actual_access:  read_only
        .address_space:  global
        .offset:         64
        .size:           8
        .value_kind:     global_buffer
      - .offset:         72
        .size:           8
        .value_kind:     by_value
      - .offset:         80
        .size:           8
        .value_kind:     by_value
      - .offset:         88
        .size:           8
        .value_kind:     by_value
      - .address_space:  global
        .offset:         96
        .size:           8
        .value_kind:     global_buffer
      - .offset:         104
        .size:           8
        .value_kind:     by_value
      - .offset:         112
        .size:           8
        .value_kind:     by_value
      - .offset:         120
        .size:           4
        .value_kind:     by_value
      - .offset:         124
        .size:           4
        .value_kind:     by_value
      - .offset:         128
        .size:           1
        .value_kind:     by_value
      - .offset:         136
        .size:           4
        .value_kind:     hidden_block_count_x
      - .offset:         140
        .size:           4
        .value_kind:     hidden_block_count_y
      - .offset:         144
        .size:           4
        .value_kind:     hidden_block_count_z
      - .offset:         148
        .size:           2
        .value_kind:     hidden_group_size_x
      - .offset:         150
        .size:           2
        .value_kind:     hidden_group_size_y
      - .offset:         152
        .size:           2
        .value_kind:     hidden_group_size_z
      - .offset:         154
        .size:           2
        .value_kind:     hidden_remainder_x
      - .offset:         156
        .size:           2
        .value_kind:     hidden_remainder_y
      - .offset:         158
        .size:           2
        .value_kind:     hidden_remainder_z
      - .offset:         176
        .size:           8
        .value_kind:     hidden_global_offset_x
      - .offset:         184
        .size:           8
        .value_kind:     hidden_global_offset_y
      - .offset:         192
        .size:           8
        .value_kind:     hidden_global_offset_z
      - .offset:         200
        .size:           2
        .value_kind:     hidden_grid_dims
    .group_segment_fixed_size: 1792
    .kernarg_segment_align: 8
    .kernarg_segment_size: 392
    .language:       OpenCL C
    .language_version:
      - 2
      - 0
    .max_flat_workgroup_size: 64
    .name:           _ZN9rocsparseL29bsrmmnt_small_blockdim_kernelILj64ELj16ELj2Eii21rocsparse_complex_numIfES2_S2_S2_EEv20rocsparse_direction_T3_S4_llNS_24const_host_device_scalarIT7_EEPKT2_PKS4_PKT4_PKT5_llS7_PT6_ll16rocsparse_order_21rocsparse_index_base_b
    .private_segment_fixed_size: 0
    .sgpr_count:     25
    .sgpr_spill_count: 0
    .symbol:         _ZN9rocsparseL29bsrmmnt_small_blockdim_kernelILj64ELj16ELj2Eii21rocsparse_complex_numIfES2_S2_S2_EEv20rocsparse_direction_T3_S4_llNS_24const_host_device_scalarIT7_EEPKT2_PKS4_PKT4_PKT5_llS7_PT6_ll16rocsparse_order_21rocsparse_index_base_b.kd
    .uniform_work_group_size: 1
    .uses_dynamic_stack: false
    .vgpr_count:     46
    .vgpr_spill_count: 0
    .wavefront_size: 32
  - .args:
      - .offset:         0
        .size:           4
        .value_kind:     by_value
      - .offset:         4
        .size:           4
        .value_kind:     by_value
      - .offset:         8
        .size:           4
        .value_kind:     by_value
      - .offset:         16
        .size:           8
        .value_kind:     by_value
      - .offset:         24
        .size:           8
        .value_kind:     by_value
      - .offset:         32
        .size:           8
        .value_kind:     by_value
      - .actual_access:  read_only
        .address_space:  global
        .offset:         40
        .size:           8
        .value_kind:     global_buffer
      - .actual_access:  read_only
        .address_space:  global
        .offset:         48
        .size:           8
        .value_kind:     global_buffer
      - .actual_access:  read_only
        .address_space:  global
        .offset:         56
        .size:           8
        .value_kind:     global_buffer
      - .actual_access:  read_only
        .address_space:  global
        .offset:         64
        .size:           8
        .value_kind:     global_buffer
      - .offset:         72
        .size:           8
        .value_kind:     by_value
      - .offset:         80
        .size:           8
        .value_kind:     by_value
      - .offset:         88
        .size:           8
        .value_kind:     by_value
      - .address_space:  global
        .offset:         96
        .size:           8
        .value_kind:     global_buffer
      - .offset:         104
        .size:           8
        .value_kind:     by_value
      - .offset:         112
        .size:           8
        .value_kind:     by_value
      - .offset:         120
        .size:           4
        .value_kind:     by_value
      - .offset:         124
        .size:           4
        .value_kind:     by_value
      - .offset:         128
        .size:           1
        .value_kind:     by_value
      - .offset:         136
        .size:           4
        .value_kind:     hidden_block_count_x
      - .offset:         140
        .size:           4
        .value_kind:     hidden_block_count_y
      - .offset:         144
        .size:           4
        .value_kind:     hidden_block_count_z
      - .offset:         148
        .size:           2
        .value_kind:     hidden_group_size_x
      - .offset:         150
        .size:           2
        .value_kind:     hidden_group_size_y
      - .offset:         152
        .size:           2
        .value_kind:     hidden_group_size_z
      - .offset:         154
        .size:           2
        .value_kind:     hidden_remainder_x
      - .offset:         156
        .size:           2
        .value_kind:     hidden_remainder_y
      - .offset:         158
        .size:           2
        .value_kind:     hidden_remainder_z
      - .offset:         176
        .size:           8
        .value_kind:     hidden_global_offset_x
      - .offset:         184
        .size:           8
        .value_kind:     hidden_global_offset_y
      - .offset:         192
        .size:           8
        .value_kind:     hidden_global_offset_z
      - .offset:         200
        .size:           2
        .value_kind:     hidden_grid_dims
    .group_segment_fixed_size: 1792
    .kernarg_segment_align: 8
    .kernarg_segment_size: 392
    .language:       OpenCL C
    .language_version:
      - 2
      - 0
    .max_flat_workgroup_size: 64
    .name:           _ZN9rocsparseL29bsrmmnt_small_blockdim_kernelILj64ELj32ELj2Eii21rocsparse_complex_numIfES2_S2_S2_EEv20rocsparse_direction_T3_S4_llNS_24const_host_device_scalarIT7_EEPKT2_PKS4_PKT4_PKT5_llS7_PT6_ll16rocsparse_order_21rocsparse_index_base_b
    .private_segment_fixed_size: 0
    .sgpr_count:     25
    .sgpr_spill_count: 0
    .symbol:         _ZN9rocsparseL29bsrmmnt_small_blockdim_kernelILj64ELj32ELj2Eii21rocsparse_complex_numIfES2_S2_S2_EEv20rocsparse_direction_T3_S4_llNS_24const_host_device_scalarIT7_EEPKT2_PKS4_PKT4_PKT5_llS7_PT6_ll16rocsparse_order_21rocsparse_index_base_b.kd
    .uniform_work_group_size: 1
    .uses_dynamic_stack: false
    .vgpr_count:     46
    .vgpr_spill_count: 0
    .wavefront_size: 32
  - .args:
      - .offset:         0
        .size:           4
        .value_kind:     by_value
      - .offset:         4
        .size:           4
        .value_kind:     by_value
      - .offset:         8
        .size:           4
        .value_kind:     by_value
      - .offset:         16
        .size:           8
        .value_kind:     by_value
      - .offset:         24
        .size:           8
        .value_kind:     by_value
      - .offset:         32
        .size:           8
        .value_kind:     by_value
      - .actual_access:  read_only
        .address_space:  global
        .offset:         40
        .size:           8
        .value_kind:     global_buffer
      - .actual_access:  read_only
        .address_space:  global
        .offset:         48
        .size:           8
        .value_kind:     global_buffer
      - .actual_access:  read_only
        .address_space:  global
        .offset:         56
        .size:           8
        .value_kind:     global_buffer
      - .actual_access:  read_only
        .address_space:  global
        .offset:         64
        .size:           8
        .value_kind:     global_buffer
      - .offset:         72
        .size:           8
        .value_kind:     by_value
      - .offset:         80
        .size:           8
        .value_kind:     by_value
      - .offset:         88
        .size:           8
        .value_kind:     by_value
      - .address_space:  global
        .offset:         96
        .size:           8
        .value_kind:     global_buffer
      - .offset:         104
        .size:           8
        .value_kind:     by_value
      - .offset:         112
        .size:           8
        .value_kind:     by_value
      - .offset:         120
        .size:           4
        .value_kind:     by_value
      - .offset:         124
        .size:           4
        .value_kind:     by_value
      - .offset:         128
        .size:           1
        .value_kind:     by_value
      - .offset:         136
        .size:           4
        .value_kind:     hidden_block_count_x
      - .offset:         140
        .size:           4
        .value_kind:     hidden_block_count_y
      - .offset:         144
        .size:           4
        .value_kind:     hidden_block_count_z
      - .offset:         148
        .size:           2
        .value_kind:     hidden_group_size_x
      - .offset:         150
        .size:           2
        .value_kind:     hidden_group_size_y
      - .offset:         152
        .size:           2
        .value_kind:     hidden_group_size_z
      - .offset:         154
        .size:           2
        .value_kind:     hidden_remainder_x
      - .offset:         156
        .size:           2
        .value_kind:     hidden_remainder_y
      - .offset:         158
        .size:           2
        .value_kind:     hidden_remainder_z
      - .offset:         176
        .size:           8
        .value_kind:     hidden_global_offset_x
      - .offset:         184
        .size:           8
        .value_kind:     hidden_global_offset_y
      - .offset:         192
        .size:           8
        .value_kind:     hidden_global_offset_z
      - .offset:         200
        .size:           2
        .value_kind:     hidden_grid_dims
    .group_segment_fixed_size: 1792
    .kernarg_segment_align: 8
    .kernarg_segment_size: 392
    .language:       OpenCL C
    .language_version:
      - 2
      - 0
    .max_flat_workgroup_size: 64
    .name:           _ZN9rocsparseL29bsrmmnt_small_blockdim_kernelILj64ELj64ELj2Eii21rocsparse_complex_numIfES2_S2_S2_EEv20rocsparse_direction_T3_S4_llNS_24const_host_device_scalarIT7_EEPKT2_PKS4_PKT4_PKT5_llS7_PT6_ll16rocsparse_order_21rocsparse_index_base_b
    .private_segment_fixed_size: 0
    .sgpr_count:     25
    .sgpr_spill_count: 0
    .symbol:         _ZN9rocsparseL29bsrmmnt_small_blockdim_kernelILj64ELj64ELj2Eii21rocsparse_complex_numIfES2_S2_S2_EEv20rocsparse_direction_T3_S4_llNS_24const_host_device_scalarIT7_EEPKT2_PKS4_PKT4_PKT5_llS7_PT6_ll16rocsparse_order_21rocsparse_index_base_b.kd
    .uniform_work_group_size: 1
    .uses_dynamic_stack: false
    .vgpr_count:     44
    .vgpr_spill_count: 0
    .wavefront_size: 32
  - .args:
      - .offset:         0
        .size:           4
        .value_kind:     by_value
      - .offset:         4
        .size:           4
        .value_kind:     by_value
      - .offset:         8
        .size:           4
        .value_kind:     by_value
      - .offset:         16
        .size:           8
        .value_kind:     by_value
      - .offset:         24
        .size:           8
        .value_kind:     by_value
      - .offset:         32
        .size:           8
        .value_kind:     by_value
      - .actual_access:  read_only
        .address_space:  global
        .offset:         40
        .size:           8
        .value_kind:     global_buffer
      - .actual_access:  read_only
        .address_space:  global
        .offset:         48
        .size:           8
        .value_kind:     global_buffer
      - .actual_access:  read_only
        .address_space:  global
        .offset:         56
        .size:           8
        .value_kind:     global_buffer
      - .actual_access:  read_only
        .address_space:  global
        .offset:         64
        .size:           8
        .value_kind:     global_buffer
      - .offset:         72
        .size:           8
        .value_kind:     by_value
      - .offset:         80
        .size:           8
        .value_kind:     by_value
      - .offset:         88
        .size:           8
        .value_kind:     by_value
      - .address_space:  global
        .offset:         96
        .size:           8
        .value_kind:     global_buffer
      - .offset:         104
        .size:           8
        .value_kind:     by_value
      - .offset:         112
        .size:           8
        .value_kind:     by_value
      - .offset:         120
        .size:           4
        .value_kind:     by_value
      - .offset:         124
        .size:           4
        .value_kind:     by_value
      - .offset:         128
        .size:           1
        .value_kind:     by_value
      - .offset:         136
        .size:           4
        .value_kind:     hidden_block_count_x
      - .offset:         140
        .size:           4
        .value_kind:     hidden_block_count_y
      - .offset:         144
        .size:           4
        .value_kind:     hidden_block_count_z
      - .offset:         148
        .size:           2
        .value_kind:     hidden_group_size_x
      - .offset:         150
        .size:           2
        .value_kind:     hidden_group_size_y
      - .offset:         152
        .size:           2
        .value_kind:     hidden_group_size_z
      - .offset:         154
        .size:           2
        .value_kind:     hidden_remainder_x
      - .offset:         156
        .size:           2
        .value_kind:     hidden_remainder_y
      - .offset:         158
        .size:           2
        .value_kind:     hidden_remainder_z
      - .offset:         176
        .size:           8
        .value_kind:     hidden_global_offset_x
      - .offset:         184
        .size:           8
        .value_kind:     hidden_global_offset_y
      - .offset:         192
        .size:           8
        .value_kind:     hidden_global_offset_z
      - .offset:         200
        .size:           2
        .value_kind:     hidden_grid_dims
    .group_segment_fixed_size: 1792
    .kernarg_segment_align: 8
    .kernarg_segment_size: 392
    .language:       OpenCL C
    .language_version:
      - 2
      - 0
    .max_flat_workgroup_size: 64
    .name:           _ZN9rocsparseL29bsrmmnt_small_blockdim_kernelILj64ELj8ELj2Eli21rocsparse_complex_numIfES2_S2_S2_EEv20rocsparse_direction_T3_S4_llNS_24const_host_device_scalarIT7_EEPKT2_PKS4_PKT4_PKT5_llS7_PT6_ll16rocsparse_order_21rocsparse_index_base_b
    .private_segment_fixed_size: 0
    .sgpr_count:     25
    .sgpr_spill_count: 0
    .symbol:         _ZN9rocsparseL29bsrmmnt_small_blockdim_kernelILj64ELj8ELj2Eli21rocsparse_complex_numIfES2_S2_S2_EEv20rocsparse_direction_T3_S4_llNS_24const_host_device_scalarIT7_EEPKT2_PKS4_PKT4_PKT5_llS7_PT6_ll16rocsparse_order_21rocsparse_index_base_b.kd
    .uniform_work_group_size: 1
    .uses_dynamic_stack: false
    .vgpr_count:     50
    .vgpr_spill_count: 0
    .wavefront_size: 32
  - .args:
      - .offset:         0
        .size:           4
        .value_kind:     by_value
      - .offset:         4
        .size:           4
        .value_kind:     by_value
      - .offset:         8
        .size:           4
        .value_kind:     by_value
      - .offset:         16
        .size:           8
        .value_kind:     by_value
      - .offset:         24
        .size:           8
        .value_kind:     by_value
      - .offset:         32
        .size:           8
        .value_kind:     by_value
      - .actual_access:  read_only
        .address_space:  global
        .offset:         40
        .size:           8
        .value_kind:     global_buffer
      - .actual_access:  read_only
        .address_space:  global
        .offset:         48
        .size:           8
        .value_kind:     global_buffer
      - .actual_access:  read_only
        .address_space:  global
        .offset:         56
        .size:           8
        .value_kind:     global_buffer
      - .actual_access:  read_only
        .address_space:  global
        .offset:         64
        .size:           8
        .value_kind:     global_buffer
      - .offset:         72
        .size:           8
        .value_kind:     by_value
      - .offset:         80
        .size:           8
        .value_kind:     by_value
      - .offset:         88
        .size:           8
        .value_kind:     by_value
      - .address_space:  global
        .offset:         96
        .size:           8
        .value_kind:     global_buffer
      - .offset:         104
        .size:           8
        .value_kind:     by_value
      - .offset:         112
        .size:           8
        .value_kind:     by_value
      - .offset:         120
        .size:           4
        .value_kind:     by_value
      - .offset:         124
        .size:           4
        .value_kind:     by_value
      - .offset:         128
        .size:           1
        .value_kind:     by_value
      - .offset:         136
        .size:           4
        .value_kind:     hidden_block_count_x
      - .offset:         140
        .size:           4
        .value_kind:     hidden_block_count_y
      - .offset:         144
        .size:           4
        .value_kind:     hidden_block_count_z
      - .offset:         148
        .size:           2
        .value_kind:     hidden_group_size_x
      - .offset:         150
        .size:           2
        .value_kind:     hidden_group_size_y
      - .offset:         152
        .size:           2
        .value_kind:     hidden_group_size_z
      - .offset:         154
        .size:           2
        .value_kind:     hidden_remainder_x
      - .offset:         156
        .size:           2
        .value_kind:     hidden_remainder_y
      - .offset:         158
        .size:           2
        .value_kind:     hidden_remainder_z
      - .offset:         176
        .size:           8
        .value_kind:     hidden_global_offset_x
      - .offset:         184
        .size:           8
        .value_kind:     hidden_global_offset_y
      - .offset:         192
        .size:           8
        .value_kind:     hidden_global_offset_z
      - .offset:         200
        .size:           2
        .value_kind:     hidden_grid_dims
    .group_segment_fixed_size: 1792
    .kernarg_segment_align: 8
    .kernarg_segment_size: 392
    .language:       OpenCL C
    .language_version:
      - 2
      - 0
    .max_flat_workgroup_size: 64
    .name:           _ZN9rocsparseL29bsrmmnt_small_blockdim_kernelILj64ELj16ELj2Eli21rocsparse_complex_numIfES2_S2_S2_EEv20rocsparse_direction_T3_S4_llNS_24const_host_device_scalarIT7_EEPKT2_PKS4_PKT4_PKT5_llS7_PT6_ll16rocsparse_order_21rocsparse_index_base_b
    .private_segment_fixed_size: 0
    .sgpr_count:     25
    .sgpr_spill_count: 0
    .symbol:         _ZN9rocsparseL29bsrmmnt_small_blockdim_kernelILj64ELj16ELj2Eli21rocsparse_complex_numIfES2_S2_S2_EEv20rocsparse_direction_T3_S4_llNS_24const_host_device_scalarIT7_EEPKT2_PKS4_PKT4_PKT5_llS7_PT6_ll16rocsparse_order_21rocsparse_index_base_b.kd
    .uniform_work_group_size: 1
    .uses_dynamic_stack: false
    .vgpr_count:     50
    .vgpr_spill_count: 0
    .wavefront_size: 32
  - .args:
      - .offset:         0
        .size:           4
        .value_kind:     by_value
      - .offset:         4
        .size:           4
        .value_kind:     by_value
      - .offset:         8
        .size:           4
        .value_kind:     by_value
      - .offset:         16
        .size:           8
        .value_kind:     by_value
      - .offset:         24
        .size:           8
        .value_kind:     by_value
      - .offset:         32
        .size:           8
        .value_kind:     by_value
      - .actual_access:  read_only
        .address_space:  global
        .offset:         40
        .size:           8
        .value_kind:     global_buffer
      - .actual_access:  read_only
        .address_space:  global
        .offset:         48
        .size:           8
        .value_kind:     global_buffer
      - .actual_access:  read_only
        .address_space:  global
        .offset:         56
        .size:           8
        .value_kind:     global_buffer
      - .actual_access:  read_only
        .address_space:  global
        .offset:         64
        .size:           8
        .value_kind:     global_buffer
      - .offset:         72
        .size:           8
        .value_kind:     by_value
      - .offset:         80
        .size:           8
        .value_kind:     by_value
      - .offset:         88
        .size:           8
        .value_kind:     by_value
      - .address_space:  global
        .offset:         96
        .size:           8
        .value_kind:     global_buffer
      - .offset:         104
        .size:           8
        .value_kind:     by_value
      - .offset:         112
        .size:           8
        .value_kind:     by_value
      - .offset:         120
        .size:           4
        .value_kind:     by_value
      - .offset:         124
        .size:           4
        .value_kind:     by_value
      - .offset:         128
        .size:           1
        .value_kind:     by_value
      - .offset:         136
        .size:           4
        .value_kind:     hidden_block_count_x
      - .offset:         140
        .size:           4
        .value_kind:     hidden_block_count_y
      - .offset:         144
        .size:           4
        .value_kind:     hidden_block_count_z
      - .offset:         148
        .size:           2
        .value_kind:     hidden_group_size_x
      - .offset:         150
        .size:           2
        .value_kind:     hidden_group_size_y
      - .offset:         152
        .size:           2
        .value_kind:     hidden_group_size_z
      - .offset:         154
        .size:           2
        .value_kind:     hidden_remainder_x
      - .offset:         156
        .size:           2
        .value_kind:     hidden_remainder_y
      - .offset:         158
        .size:           2
        .value_kind:     hidden_remainder_z
      - .offset:         176
        .size:           8
        .value_kind:     hidden_global_offset_x
      - .offset:         184
        .size:           8
        .value_kind:     hidden_global_offset_y
      - .offset:         192
        .size:           8
        .value_kind:     hidden_global_offset_z
      - .offset:         200
        .size:           2
        .value_kind:     hidden_grid_dims
    .group_segment_fixed_size: 1792
    .kernarg_segment_align: 8
    .kernarg_segment_size: 392
    .language:       OpenCL C
    .language_version:
      - 2
      - 0
    .max_flat_workgroup_size: 64
    .name:           _ZN9rocsparseL29bsrmmnt_small_blockdim_kernelILj64ELj32ELj2Eli21rocsparse_complex_numIfES2_S2_S2_EEv20rocsparse_direction_T3_S4_llNS_24const_host_device_scalarIT7_EEPKT2_PKS4_PKT4_PKT5_llS7_PT6_ll16rocsparse_order_21rocsparse_index_base_b
    .private_segment_fixed_size: 0
    .sgpr_count:     25
    .sgpr_spill_count: 0
    .symbol:         _ZN9rocsparseL29bsrmmnt_small_blockdim_kernelILj64ELj32ELj2Eli21rocsparse_complex_numIfES2_S2_S2_EEv20rocsparse_direction_T3_S4_llNS_24const_host_device_scalarIT7_EEPKT2_PKS4_PKT4_PKT5_llS7_PT6_ll16rocsparse_order_21rocsparse_index_base_b.kd
    .uniform_work_group_size: 1
    .uses_dynamic_stack: false
    .vgpr_count:     50
    .vgpr_spill_count: 0
    .wavefront_size: 32
  - .args:
      - .offset:         0
        .size:           4
        .value_kind:     by_value
      - .offset:         4
        .size:           4
        .value_kind:     by_value
      - .offset:         8
        .size:           4
        .value_kind:     by_value
      - .offset:         16
        .size:           8
        .value_kind:     by_value
      - .offset:         24
        .size:           8
        .value_kind:     by_value
      - .offset:         32
        .size:           8
        .value_kind:     by_value
      - .actual_access:  read_only
        .address_space:  global
        .offset:         40
        .size:           8
        .value_kind:     global_buffer
      - .actual_access:  read_only
        .address_space:  global
        .offset:         48
        .size:           8
        .value_kind:     global_buffer
      - .actual_access:  read_only
        .address_space:  global
        .offset:         56
        .size:           8
        .value_kind:     global_buffer
      - .actual_access:  read_only
        .address_space:  global
        .offset:         64
        .size:           8
        .value_kind:     global_buffer
      - .offset:         72
        .size:           8
        .value_kind:     by_value
      - .offset:         80
        .size:           8
        .value_kind:     by_value
      - .offset:         88
        .size:           8
        .value_kind:     by_value
      - .address_space:  global
        .offset:         96
        .size:           8
        .value_kind:     global_buffer
      - .offset:         104
        .size:           8
        .value_kind:     by_value
      - .offset:         112
        .size:           8
        .value_kind:     by_value
      - .offset:         120
        .size:           4
        .value_kind:     by_value
      - .offset:         124
        .size:           4
        .value_kind:     by_value
      - .offset:         128
        .size:           1
        .value_kind:     by_value
      - .offset:         136
        .size:           4
        .value_kind:     hidden_block_count_x
      - .offset:         140
        .size:           4
        .value_kind:     hidden_block_count_y
      - .offset:         144
        .size:           4
        .value_kind:     hidden_block_count_z
      - .offset:         148
        .size:           2
        .value_kind:     hidden_group_size_x
      - .offset:         150
        .size:           2
        .value_kind:     hidden_group_size_y
      - .offset:         152
        .size:           2
        .value_kind:     hidden_group_size_z
      - .offset:         154
        .size:           2
        .value_kind:     hidden_remainder_x
      - .offset:         156
        .size:           2
        .value_kind:     hidden_remainder_y
      - .offset:         158
        .size:           2
        .value_kind:     hidden_remainder_z
      - .offset:         176
        .size:           8
        .value_kind:     hidden_global_offset_x
      - .offset:         184
        .size:           8
        .value_kind:     hidden_global_offset_y
      - .offset:         192
        .size:           8
        .value_kind:     hidden_global_offset_z
      - .offset:         200
        .size:           2
        .value_kind:     hidden_grid_dims
    .group_segment_fixed_size: 1792
    .kernarg_segment_align: 8
    .kernarg_segment_size: 392
    .language:       OpenCL C
    .language_version:
      - 2
      - 0
    .max_flat_workgroup_size: 64
    .name:           _ZN9rocsparseL29bsrmmnt_small_blockdim_kernelILj64ELj64ELj2Eli21rocsparse_complex_numIfES2_S2_S2_EEv20rocsparse_direction_T3_S4_llNS_24const_host_device_scalarIT7_EEPKT2_PKS4_PKT4_PKT5_llS7_PT6_ll16rocsparse_order_21rocsparse_index_base_b
    .private_segment_fixed_size: 0
    .sgpr_count:     25
    .sgpr_spill_count: 0
    .symbol:         _ZN9rocsparseL29bsrmmnt_small_blockdim_kernelILj64ELj64ELj2Eli21rocsparse_complex_numIfES2_S2_S2_EEv20rocsparse_direction_T3_S4_llNS_24const_host_device_scalarIT7_EEPKT2_PKS4_PKT4_PKT5_llS7_PT6_ll16rocsparse_order_21rocsparse_index_base_b.kd
    .uniform_work_group_size: 1
    .uses_dynamic_stack: false
    .vgpr_count:     48
    .vgpr_spill_count: 0
    .wavefront_size: 32
  - .args:
      - .offset:         0
        .size:           4
        .value_kind:     by_value
      - .offset:         8
        .size:           8
        .value_kind:     by_value
      - .offset:         16
        .size:           8
        .value_kind:     by_value
      - .offset:         24
        .size:           8
        .value_kind:     by_value
      - .offset:         32
        .size:           8
        .value_kind:     by_value
      - .offset:         40
        .size:           8
        .value_kind:     by_value
      - .actual_access:  read_only
        .address_space:  global
        .offset:         48
        .size:           8
        .value_kind:     global_buffer
      - .actual_access:  read_only
        .address_space:  global
        .offset:         56
        .size:           8
        .value_kind:     global_buffer
      - .actual_access:  read_only
        .address_space:  global
        .offset:         64
        .size:           8
        .value_kind:     global_buffer
      - .actual_access:  read_only
        .address_space:  global
        .offset:         72
        .size:           8
        .value_kind:     global_buffer
      - .offset:         80
        .size:           8
        .value_kind:     by_value
      - .offset:         88
        .size:           8
        .value_kind:     by_value
      - .offset:         96
        .size:           8
        .value_kind:     by_value
      - .address_space:  global
        .offset:         104
        .size:           8
        .value_kind:     global_buffer
      - .offset:         112
        .size:           8
        .value_kind:     by_value
      - .offset:         120
        .size:           8
        .value_kind:     by_value
      - .offset:         128
        .size:           4
        .value_kind:     by_value
      - .offset:         132
        .size:           4
        .value_kind:     by_value
      - .offset:         136
        .size:           1
        .value_kind:     by_value
      - .offset:         144
        .size:           4
        .value_kind:     hidden_block_count_x
      - .offset:         148
        .size:           4
        .value_kind:     hidden_block_count_y
      - .offset:         152
        .size:           4
        .value_kind:     hidden_block_count_z
      - .offset:         156
        .size:           2
        .value_kind:     hidden_group_size_x
      - .offset:         158
        .size:           2
        .value_kind:     hidden_group_size_y
      - .offset:         160
        .size:           2
        .value_kind:     hidden_group_size_z
      - .offset:         162
        .size:           2
        .value_kind:     hidden_remainder_x
      - .offset:         164
        .size:           2
        .value_kind:     hidden_remainder_y
      - .offset:         166
        .size:           2
        .value_kind:     hidden_remainder_z
      - .offset:         184
        .size:           8
        .value_kind:     hidden_global_offset_x
      - .offset:         192
        .size:           8
        .value_kind:     hidden_global_offset_y
      - .offset:         200
        .size:           8
        .value_kind:     hidden_global_offset_z
      - .offset:         208
        .size:           2
        .value_kind:     hidden_grid_dims
    .group_segment_fixed_size: 2048
    .kernarg_segment_align: 8
    .kernarg_segment_size: 400
    .language:       OpenCL C
    .language_version:
      - 2
      - 0
    .max_flat_workgroup_size: 64
    .name:           _ZN9rocsparseL29bsrmmnt_small_blockdim_kernelILj64ELj8ELj2Ell21rocsparse_complex_numIfES2_S2_S2_EEv20rocsparse_direction_T3_S4_llNS_24const_host_device_scalarIT7_EEPKT2_PKS4_PKT4_PKT5_llS7_PT6_ll16rocsparse_order_21rocsparse_index_base_b
    .private_segment_fixed_size: 0
    .sgpr_count:     29
    .sgpr_spill_count: 0
    .symbol:         _ZN9rocsparseL29bsrmmnt_small_blockdim_kernelILj64ELj8ELj2Ell21rocsparse_complex_numIfES2_S2_S2_EEv20rocsparse_direction_T3_S4_llNS_24const_host_device_scalarIT7_EEPKT2_PKS4_PKT4_PKT5_llS7_PT6_ll16rocsparse_order_21rocsparse_index_base_b.kd
    .uniform_work_group_size: 1
    .uses_dynamic_stack: false
    .vgpr_count:     52
    .vgpr_spill_count: 0
    .wavefront_size: 32
  - .args:
      - .offset:         0
        .size:           4
        .value_kind:     by_value
      - .offset:         8
        .size:           8
        .value_kind:     by_value
      - .offset:         16
        .size:           8
        .value_kind:     by_value
      - .offset:         24
        .size:           8
        .value_kind:     by_value
      - .offset:         32
        .size:           8
        .value_kind:     by_value
      - .offset:         40
        .size:           8
        .value_kind:     by_value
      - .actual_access:  read_only
        .address_space:  global
        .offset:         48
        .size:           8
        .value_kind:     global_buffer
      - .actual_access:  read_only
        .address_space:  global
        .offset:         56
        .size:           8
        .value_kind:     global_buffer
      - .actual_access:  read_only
        .address_space:  global
        .offset:         64
        .size:           8
        .value_kind:     global_buffer
      - .actual_access:  read_only
        .address_space:  global
        .offset:         72
        .size:           8
        .value_kind:     global_buffer
      - .offset:         80
        .size:           8
        .value_kind:     by_value
      - .offset:         88
        .size:           8
        .value_kind:     by_value
      - .offset:         96
        .size:           8
        .value_kind:     by_value
      - .address_space:  global
        .offset:         104
        .size:           8
        .value_kind:     global_buffer
      - .offset:         112
        .size:           8
        .value_kind:     by_value
      - .offset:         120
        .size:           8
        .value_kind:     by_value
      - .offset:         128
        .size:           4
        .value_kind:     by_value
      - .offset:         132
        .size:           4
        .value_kind:     by_value
      - .offset:         136
        .size:           1
        .value_kind:     by_value
      - .offset:         144
        .size:           4
        .value_kind:     hidden_block_count_x
      - .offset:         148
        .size:           4
        .value_kind:     hidden_block_count_y
      - .offset:         152
        .size:           4
        .value_kind:     hidden_block_count_z
      - .offset:         156
        .size:           2
        .value_kind:     hidden_group_size_x
      - .offset:         158
        .size:           2
        .value_kind:     hidden_group_size_y
      - .offset:         160
        .size:           2
        .value_kind:     hidden_group_size_z
      - .offset:         162
        .size:           2
        .value_kind:     hidden_remainder_x
      - .offset:         164
        .size:           2
        .value_kind:     hidden_remainder_y
      - .offset:         166
        .size:           2
        .value_kind:     hidden_remainder_z
      - .offset:         184
        .size:           8
        .value_kind:     hidden_global_offset_x
      - .offset:         192
        .size:           8
        .value_kind:     hidden_global_offset_y
      - .offset:         200
        .size:           8
        .value_kind:     hidden_global_offset_z
      - .offset:         208
        .size:           2
        .value_kind:     hidden_grid_dims
    .group_segment_fixed_size: 2048
    .kernarg_segment_align: 8
    .kernarg_segment_size: 400
    .language:       OpenCL C
    .language_version:
      - 2
      - 0
    .max_flat_workgroup_size: 64
    .name:           _ZN9rocsparseL29bsrmmnt_small_blockdim_kernelILj64ELj16ELj2Ell21rocsparse_complex_numIfES2_S2_S2_EEv20rocsparse_direction_T3_S4_llNS_24const_host_device_scalarIT7_EEPKT2_PKS4_PKT4_PKT5_llS7_PT6_ll16rocsparse_order_21rocsparse_index_base_b
    .private_segment_fixed_size: 0
    .sgpr_count:     29
    .sgpr_spill_count: 0
    .symbol:         _ZN9rocsparseL29bsrmmnt_small_blockdim_kernelILj64ELj16ELj2Ell21rocsparse_complex_numIfES2_S2_S2_EEv20rocsparse_direction_T3_S4_llNS_24const_host_device_scalarIT7_EEPKT2_PKS4_PKT4_PKT5_llS7_PT6_ll16rocsparse_order_21rocsparse_index_base_b.kd
    .uniform_work_group_size: 1
    .uses_dynamic_stack: false
    .vgpr_count:     52
    .vgpr_spill_count: 0
    .wavefront_size: 32
  - .args:
      - .offset:         0
        .size:           4
        .value_kind:     by_value
      - .offset:         8
        .size:           8
        .value_kind:     by_value
      - .offset:         16
        .size:           8
        .value_kind:     by_value
      - .offset:         24
        .size:           8
        .value_kind:     by_value
      - .offset:         32
        .size:           8
        .value_kind:     by_value
      - .offset:         40
        .size:           8
        .value_kind:     by_value
      - .actual_access:  read_only
        .address_space:  global
        .offset:         48
        .size:           8
        .value_kind:     global_buffer
      - .actual_access:  read_only
        .address_space:  global
        .offset:         56
        .size:           8
        .value_kind:     global_buffer
      - .actual_access:  read_only
        .address_space:  global
        .offset:         64
        .size:           8
        .value_kind:     global_buffer
      - .actual_access:  read_only
        .address_space:  global
        .offset:         72
        .size:           8
        .value_kind:     global_buffer
      - .offset:         80
        .size:           8
        .value_kind:     by_value
      - .offset:         88
        .size:           8
        .value_kind:     by_value
      - .offset:         96
        .size:           8
        .value_kind:     by_value
      - .address_space:  global
        .offset:         104
        .size:           8
        .value_kind:     global_buffer
      - .offset:         112
        .size:           8
        .value_kind:     by_value
      - .offset:         120
        .size:           8
        .value_kind:     by_value
      - .offset:         128
        .size:           4
        .value_kind:     by_value
      - .offset:         132
        .size:           4
        .value_kind:     by_value
      - .offset:         136
        .size:           1
        .value_kind:     by_value
      - .offset:         144
        .size:           4
        .value_kind:     hidden_block_count_x
      - .offset:         148
        .size:           4
        .value_kind:     hidden_block_count_y
      - .offset:         152
        .size:           4
        .value_kind:     hidden_block_count_z
      - .offset:         156
        .size:           2
        .value_kind:     hidden_group_size_x
      - .offset:         158
        .size:           2
        .value_kind:     hidden_group_size_y
      - .offset:         160
        .size:           2
        .value_kind:     hidden_group_size_z
      - .offset:         162
        .size:           2
        .value_kind:     hidden_remainder_x
      - .offset:         164
        .size:           2
        .value_kind:     hidden_remainder_y
      - .offset:         166
        .size:           2
        .value_kind:     hidden_remainder_z
      - .offset:         184
        .size:           8
        .value_kind:     hidden_global_offset_x
      - .offset:         192
        .size:           8
        .value_kind:     hidden_global_offset_y
      - .offset:         200
        .size:           8
        .value_kind:     hidden_global_offset_z
      - .offset:         208
        .size:           2
        .value_kind:     hidden_grid_dims
    .group_segment_fixed_size: 2048
    .kernarg_segment_align: 8
    .kernarg_segment_size: 400
    .language:       OpenCL C
    .language_version:
      - 2
      - 0
    .max_flat_workgroup_size: 64
    .name:           _ZN9rocsparseL29bsrmmnt_small_blockdim_kernelILj64ELj32ELj2Ell21rocsparse_complex_numIfES2_S2_S2_EEv20rocsparse_direction_T3_S4_llNS_24const_host_device_scalarIT7_EEPKT2_PKS4_PKT4_PKT5_llS7_PT6_ll16rocsparse_order_21rocsparse_index_base_b
    .private_segment_fixed_size: 0
    .sgpr_count:     29
    .sgpr_spill_count: 0
    .symbol:         _ZN9rocsparseL29bsrmmnt_small_blockdim_kernelILj64ELj32ELj2Ell21rocsparse_complex_numIfES2_S2_S2_EEv20rocsparse_direction_T3_S4_llNS_24const_host_device_scalarIT7_EEPKT2_PKS4_PKT4_PKT5_llS7_PT6_ll16rocsparse_order_21rocsparse_index_base_b.kd
    .uniform_work_group_size: 1
    .uses_dynamic_stack: false
    .vgpr_count:     52
    .vgpr_spill_count: 0
    .wavefront_size: 32
  - .args:
      - .offset:         0
        .size:           4
        .value_kind:     by_value
      - .offset:         8
        .size:           8
        .value_kind:     by_value
      - .offset:         16
        .size:           8
        .value_kind:     by_value
      - .offset:         24
        .size:           8
        .value_kind:     by_value
      - .offset:         32
        .size:           8
        .value_kind:     by_value
      - .offset:         40
        .size:           8
        .value_kind:     by_value
      - .actual_access:  read_only
        .address_space:  global
        .offset:         48
        .size:           8
        .value_kind:     global_buffer
      - .actual_access:  read_only
        .address_space:  global
        .offset:         56
        .size:           8
        .value_kind:     global_buffer
      - .actual_access:  read_only
        .address_space:  global
        .offset:         64
        .size:           8
        .value_kind:     global_buffer
      - .actual_access:  read_only
        .address_space:  global
        .offset:         72
        .size:           8
        .value_kind:     global_buffer
      - .offset:         80
        .size:           8
        .value_kind:     by_value
      - .offset:         88
        .size:           8
        .value_kind:     by_value
      - .offset:         96
        .size:           8
        .value_kind:     by_value
      - .address_space:  global
        .offset:         104
        .size:           8
        .value_kind:     global_buffer
      - .offset:         112
        .size:           8
        .value_kind:     by_value
      - .offset:         120
        .size:           8
        .value_kind:     by_value
      - .offset:         128
        .size:           4
        .value_kind:     by_value
      - .offset:         132
        .size:           4
        .value_kind:     by_value
      - .offset:         136
        .size:           1
        .value_kind:     by_value
      - .offset:         144
        .size:           4
        .value_kind:     hidden_block_count_x
      - .offset:         148
        .size:           4
        .value_kind:     hidden_block_count_y
      - .offset:         152
        .size:           4
        .value_kind:     hidden_block_count_z
      - .offset:         156
        .size:           2
        .value_kind:     hidden_group_size_x
      - .offset:         158
        .size:           2
        .value_kind:     hidden_group_size_y
      - .offset:         160
        .size:           2
        .value_kind:     hidden_group_size_z
      - .offset:         162
        .size:           2
        .value_kind:     hidden_remainder_x
      - .offset:         164
        .size:           2
        .value_kind:     hidden_remainder_y
      - .offset:         166
        .size:           2
        .value_kind:     hidden_remainder_z
      - .offset:         184
        .size:           8
        .value_kind:     hidden_global_offset_x
      - .offset:         192
        .size:           8
        .value_kind:     hidden_global_offset_y
      - .offset:         200
        .size:           8
        .value_kind:     hidden_global_offset_z
      - .offset:         208
        .size:           2
        .value_kind:     hidden_grid_dims
    .group_segment_fixed_size: 2048
    .kernarg_segment_align: 8
    .kernarg_segment_size: 400
    .language:       OpenCL C
    .language_version:
      - 2
      - 0
    .max_flat_workgroup_size: 64
    .name:           _ZN9rocsparseL29bsrmmnt_small_blockdim_kernelILj64ELj64ELj2Ell21rocsparse_complex_numIfES2_S2_S2_EEv20rocsparse_direction_T3_S4_llNS_24const_host_device_scalarIT7_EEPKT2_PKS4_PKT4_PKT5_llS7_PT6_ll16rocsparse_order_21rocsparse_index_base_b
    .private_segment_fixed_size: 0
    .sgpr_count:     29
    .sgpr_spill_count: 0
    .symbol:         _ZN9rocsparseL29bsrmmnt_small_blockdim_kernelILj64ELj64ELj2Ell21rocsparse_complex_numIfES2_S2_S2_EEv20rocsparse_direction_T3_S4_llNS_24const_host_device_scalarIT7_EEPKT2_PKS4_PKT4_PKT5_llS7_PT6_ll16rocsparse_order_21rocsparse_index_base_b.kd
    .uniform_work_group_size: 1
    .uses_dynamic_stack: false
    .vgpr_count:     50
    .vgpr_spill_count: 0
    .wavefront_size: 32
  - .args:
      - .offset:         0
        .size:           4
        .value_kind:     by_value
      - .offset:         4
        .size:           4
        .value_kind:     by_value
      - .offset:         8
        .size:           4
        .value_kind:     by_value
      - .offset:         16
        .size:           8
        .value_kind:     by_value
      - .offset:         24
        .size:           8
        .value_kind:     by_value
      - .offset:         32
        .size:           16
        .value_kind:     by_value
      - .actual_access:  read_only
        .address_space:  global
        .offset:         48
        .size:           8
        .value_kind:     global_buffer
      - .actual_access:  read_only
        .address_space:  global
        .offset:         56
        .size:           8
        .value_kind:     global_buffer
      - .actual_access:  read_only
        .address_space:  global
        .offset:         64
        .size:           8
        .value_kind:     global_buffer
      - .actual_access:  read_only
        .address_space:  global
        .offset:         72
        .size:           8
        .value_kind:     global_buffer
      - .offset:         80
        .size:           8
        .value_kind:     by_value
      - .offset:         88
        .size:           8
        .value_kind:     by_value
      - .offset:         96
        .size:           16
        .value_kind:     by_value
      - .address_space:  global
        .offset:         112
        .size:           8
        .value_kind:     global_buffer
      - .offset:         120
        .size:           8
        .value_kind:     by_value
      - .offset:         128
        .size:           8
        .value_kind:     by_value
      - .offset:         136
        .size:           4
        .value_kind:     by_value
      - .offset:         140
        .size:           4
        .value_kind:     by_value
      - .offset:         144
        .size:           1
        .value_kind:     by_value
      - .offset:         152
        .size:           4
        .value_kind:     hidden_block_count_x
      - .offset:         156
        .size:           4
        .value_kind:     hidden_block_count_y
      - .offset:         160
        .size:           4
        .value_kind:     hidden_block_count_z
      - .offset:         164
        .size:           2
        .value_kind:     hidden_group_size_x
      - .offset:         166
        .size:           2
        .value_kind:     hidden_group_size_y
      - .offset:         168
        .size:           2
        .value_kind:     hidden_group_size_z
      - .offset:         170
        .size:           2
        .value_kind:     hidden_remainder_x
      - .offset:         172
        .size:           2
        .value_kind:     hidden_remainder_y
      - .offset:         174
        .size:           2
        .value_kind:     hidden_remainder_z
      - .offset:         192
        .size:           8
        .value_kind:     hidden_global_offset_x
      - .offset:         200
        .size:           8
        .value_kind:     hidden_global_offset_y
      - .offset:         208
        .size:           8
        .value_kind:     hidden_global_offset_z
      - .offset:         216
        .size:           2
        .value_kind:     hidden_grid_dims
    .group_segment_fixed_size: 3328
    .kernarg_segment_align: 8
    .kernarg_segment_size: 408
    .language:       OpenCL C
    .language_version:
      - 2
      - 0
    .max_flat_workgroup_size: 64
    .name:           _ZN9rocsparseL29bsrmmnt_small_blockdim_kernelILj64ELj8ELj2Eii21rocsparse_complex_numIdES2_S2_S2_EEv20rocsparse_direction_T3_S4_llNS_24const_host_device_scalarIT7_EEPKT2_PKS4_PKT4_PKT5_llS7_PT6_ll16rocsparse_order_21rocsparse_index_base_b
    .private_segment_fixed_size: 0
    .sgpr_count:     25
    .sgpr_spill_count: 0
    .symbol:         _ZN9rocsparseL29bsrmmnt_small_blockdim_kernelILj64ELj8ELj2Eii21rocsparse_complex_numIdES2_S2_S2_EEv20rocsparse_direction_T3_S4_llNS_24const_host_device_scalarIT7_EEPKT2_PKS4_PKT4_PKT5_llS7_PT6_ll16rocsparse_order_21rocsparse_index_base_b.kd
    .uniform_work_group_size: 1
    .uses_dynamic_stack: false
    .vgpr_count:     58
    .vgpr_spill_count: 0
    .wavefront_size: 32
  - .args:
      - .offset:         0
        .size:           4
        .value_kind:     by_value
      - .offset:         4
        .size:           4
        .value_kind:     by_value
      - .offset:         8
        .size:           4
        .value_kind:     by_value
      - .offset:         16
        .size:           8
        .value_kind:     by_value
      - .offset:         24
        .size:           8
        .value_kind:     by_value
      - .offset:         32
        .size:           16
        .value_kind:     by_value
      - .actual_access:  read_only
        .address_space:  global
        .offset:         48
        .size:           8
        .value_kind:     global_buffer
      - .actual_access:  read_only
        .address_space:  global
        .offset:         56
        .size:           8
        .value_kind:     global_buffer
      - .actual_access:  read_only
        .address_space:  global
        .offset:         64
        .size:           8
        .value_kind:     global_buffer
      - .actual_access:  read_only
        .address_space:  global
        .offset:         72
        .size:           8
        .value_kind:     global_buffer
      - .offset:         80
        .size:           8
        .value_kind:     by_value
      - .offset:         88
        .size:           8
        .value_kind:     by_value
      - .offset:         96
        .size:           16
        .value_kind:     by_value
      - .address_space:  global
        .offset:         112
        .size:           8
        .value_kind:     global_buffer
      - .offset:         120
        .size:           8
        .value_kind:     by_value
      - .offset:         128
        .size:           8
        .value_kind:     by_value
      - .offset:         136
        .size:           4
        .value_kind:     by_value
      - .offset:         140
        .size:           4
        .value_kind:     by_value
      - .offset:         144
        .size:           1
        .value_kind:     by_value
      - .offset:         152
        .size:           4
        .value_kind:     hidden_block_count_x
      - .offset:         156
        .size:           4
        .value_kind:     hidden_block_count_y
      - .offset:         160
        .size:           4
        .value_kind:     hidden_block_count_z
      - .offset:         164
        .size:           2
        .value_kind:     hidden_group_size_x
      - .offset:         166
        .size:           2
        .value_kind:     hidden_group_size_y
      - .offset:         168
        .size:           2
        .value_kind:     hidden_group_size_z
      - .offset:         170
        .size:           2
        .value_kind:     hidden_remainder_x
      - .offset:         172
        .size:           2
        .value_kind:     hidden_remainder_y
      - .offset:         174
        .size:           2
        .value_kind:     hidden_remainder_z
      - .offset:         192
        .size:           8
        .value_kind:     hidden_global_offset_x
      - .offset:         200
        .size:           8
        .value_kind:     hidden_global_offset_y
      - .offset:         208
        .size:           8
        .value_kind:     hidden_global_offset_z
      - .offset:         216
        .size:           2
        .value_kind:     hidden_grid_dims
    .group_segment_fixed_size: 3328
    .kernarg_segment_align: 8
    .kernarg_segment_size: 408
    .language:       OpenCL C
    .language_version:
      - 2
      - 0
    .max_flat_workgroup_size: 64
    .name:           _ZN9rocsparseL29bsrmmnt_small_blockdim_kernelILj64ELj16ELj2Eii21rocsparse_complex_numIdES2_S2_S2_EEv20rocsparse_direction_T3_S4_llNS_24const_host_device_scalarIT7_EEPKT2_PKS4_PKT4_PKT5_llS7_PT6_ll16rocsparse_order_21rocsparse_index_base_b
    .private_segment_fixed_size: 0
    .sgpr_count:     25
    .sgpr_spill_count: 0
    .symbol:         _ZN9rocsparseL29bsrmmnt_small_blockdim_kernelILj64ELj16ELj2Eii21rocsparse_complex_numIdES2_S2_S2_EEv20rocsparse_direction_T3_S4_llNS_24const_host_device_scalarIT7_EEPKT2_PKS4_PKT4_PKT5_llS7_PT6_ll16rocsparse_order_21rocsparse_index_base_b.kd
    .uniform_work_group_size: 1
    .uses_dynamic_stack: false
    .vgpr_count:     58
    .vgpr_spill_count: 0
    .wavefront_size: 32
  - .args:
      - .offset:         0
        .size:           4
        .value_kind:     by_value
      - .offset:         4
        .size:           4
        .value_kind:     by_value
      - .offset:         8
        .size:           4
        .value_kind:     by_value
      - .offset:         16
        .size:           8
        .value_kind:     by_value
      - .offset:         24
        .size:           8
        .value_kind:     by_value
      - .offset:         32
        .size:           16
        .value_kind:     by_value
      - .actual_access:  read_only
        .address_space:  global
        .offset:         48
        .size:           8
        .value_kind:     global_buffer
      - .actual_access:  read_only
        .address_space:  global
        .offset:         56
        .size:           8
        .value_kind:     global_buffer
      - .actual_access:  read_only
        .address_space:  global
        .offset:         64
        .size:           8
        .value_kind:     global_buffer
      - .actual_access:  read_only
        .address_space:  global
        .offset:         72
        .size:           8
        .value_kind:     global_buffer
      - .offset:         80
        .size:           8
        .value_kind:     by_value
      - .offset:         88
        .size:           8
        .value_kind:     by_value
      - .offset:         96
        .size:           16
        .value_kind:     by_value
      - .address_space:  global
        .offset:         112
        .size:           8
        .value_kind:     global_buffer
      - .offset:         120
        .size:           8
        .value_kind:     by_value
      - .offset:         128
        .size:           8
        .value_kind:     by_value
      - .offset:         136
        .size:           4
        .value_kind:     by_value
      - .offset:         140
        .size:           4
        .value_kind:     by_value
      - .offset:         144
        .size:           1
        .value_kind:     by_value
      - .offset:         152
        .size:           4
        .value_kind:     hidden_block_count_x
      - .offset:         156
        .size:           4
        .value_kind:     hidden_block_count_y
      - .offset:         160
        .size:           4
        .value_kind:     hidden_block_count_z
      - .offset:         164
        .size:           2
        .value_kind:     hidden_group_size_x
      - .offset:         166
        .size:           2
        .value_kind:     hidden_group_size_y
      - .offset:         168
        .size:           2
        .value_kind:     hidden_group_size_z
      - .offset:         170
        .size:           2
        .value_kind:     hidden_remainder_x
      - .offset:         172
        .size:           2
        .value_kind:     hidden_remainder_y
      - .offset:         174
        .size:           2
        .value_kind:     hidden_remainder_z
      - .offset:         192
        .size:           8
        .value_kind:     hidden_global_offset_x
      - .offset:         200
        .size:           8
        .value_kind:     hidden_global_offset_y
      - .offset:         208
        .size:           8
        .value_kind:     hidden_global_offset_z
      - .offset:         216
        .size:           2
        .value_kind:     hidden_grid_dims
    .group_segment_fixed_size: 3328
    .kernarg_segment_align: 8
    .kernarg_segment_size: 408
    .language:       OpenCL C
    .language_version:
      - 2
      - 0
    .max_flat_workgroup_size: 64
    .name:           _ZN9rocsparseL29bsrmmnt_small_blockdim_kernelILj64ELj32ELj2Eii21rocsparse_complex_numIdES2_S2_S2_EEv20rocsparse_direction_T3_S4_llNS_24const_host_device_scalarIT7_EEPKT2_PKS4_PKT4_PKT5_llS7_PT6_ll16rocsparse_order_21rocsparse_index_base_b
    .private_segment_fixed_size: 0
    .sgpr_count:     25
    .sgpr_spill_count: 0
    .symbol:         _ZN9rocsparseL29bsrmmnt_small_blockdim_kernelILj64ELj32ELj2Eii21rocsparse_complex_numIdES2_S2_S2_EEv20rocsparse_direction_T3_S4_llNS_24const_host_device_scalarIT7_EEPKT2_PKS4_PKT4_PKT5_llS7_PT6_ll16rocsparse_order_21rocsparse_index_base_b.kd
    .uniform_work_group_size: 1
    .uses_dynamic_stack: false
    .vgpr_count:     58
    .vgpr_spill_count: 0
    .wavefront_size: 32
  - .args:
      - .offset:         0
        .size:           4
        .value_kind:     by_value
      - .offset:         4
        .size:           4
        .value_kind:     by_value
      - .offset:         8
        .size:           4
        .value_kind:     by_value
      - .offset:         16
        .size:           8
        .value_kind:     by_value
      - .offset:         24
        .size:           8
        .value_kind:     by_value
      - .offset:         32
        .size:           16
        .value_kind:     by_value
      - .actual_access:  read_only
        .address_space:  global
        .offset:         48
        .size:           8
        .value_kind:     global_buffer
      - .actual_access:  read_only
        .address_space:  global
        .offset:         56
        .size:           8
        .value_kind:     global_buffer
      - .actual_access:  read_only
        .address_space:  global
        .offset:         64
        .size:           8
        .value_kind:     global_buffer
      - .actual_access:  read_only
        .address_space:  global
        .offset:         72
        .size:           8
        .value_kind:     global_buffer
      - .offset:         80
        .size:           8
        .value_kind:     by_value
      - .offset:         88
        .size:           8
        .value_kind:     by_value
      - .offset:         96
        .size:           16
        .value_kind:     by_value
      - .address_space:  global
        .offset:         112
        .size:           8
        .value_kind:     global_buffer
      - .offset:         120
        .size:           8
        .value_kind:     by_value
      - .offset:         128
        .size:           8
        .value_kind:     by_value
      - .offset:         136
        .size:           4
        .value_kind:     by_value
      - .offset:         140
        .size:           4
        .value_kind:     by_value
      - .offset:         144
        .size:           1
        .value_kind:     by_value
      - .offset:         152
        .size:           4
        .value_kind:     hidden_block_count_x
      - .offset:         156
        .size:           4
        .value_kind:     hidden_block_count_y
      - .offset:         160
        .size:           4
        .value_kind:     hidden_block_count_z
      - .offset:         164
        .size:           2
        .value_kind:     hidden_group_size_x
      - .offset:         166
        .size:           2
        .value_kind:     hidden_group_size_y
      - .offset:         168
        .size:           2
        .value_kind:     hidden_group_size_z
      - .offset:         170
        .size:           2
        .value_kind:     hidden_remainder_x
      - .offset:         172
        .size:           2
        .value_kind:     hidden_remainder_y
      - .offset:         174
        .size:           2
        .value_kind:     hidden_remainder_z
      - .offset:         192
        .size:           8
        .value_kind:     hidden_global_offset_x
      - .offset:         200
        .size:           8
        .value_kind:     hidden_global_offset_y
      - .offset:         208
        .size:           8
        .value_kind:     hidden_global_offset_z
      - .offset:         216
        .size:           2
        .value_kind:     hidden_grid_dims
    .group_segment_fixed_size: 3328
    .kernarg_segment_align: 8
    .kernarg_segment_size: 408
    .language:       OpenCL C
    .language_version:
      - 2
      - 0
    .max_flat_workgroup_size: 64
    .name:           _ZN9rocsparseL29bsrmmnt_small_blockdim_kernelILj64ELj64ELj2Eii21rocsparse_complex_numIdES2_S2_S2_EEv20rocsparse_direction_T3_S4_llNS_24const_host_device_scalarIT7_EEPKT2_PKS4_PKT4_PKT5_llS7_PT6_ll16rocsparse_order_21rocsparse_index_base_b
    .private_segment_fixed_size: 0
    .sgpr_count:     25
    .sgpr_spill_count: 0
    .symbol:         _ZN9rocsparseL29bsrmmnt_small_blockdim_kernelILj64ELj64ELj2Eii21rocsparse_complex_numIdES2_S2_S2_EEv20rocsparse_direction_T3_S4_llNS_24const_host_device_scalarIT7_EEPKT2_PKS4_PKT4_PKT5_llS7_PT6_ll16rocsparse_order_21rocsparse_index_base_b.kd
    .uniform_work_group_size: 1
    .uses_dynamic_stack: false
    .vgpr_count:     56
    .vgpr_spill_count: 0
    .wavefront_size: 32
  - .args:
      - .offset:         0
        .size:           4
        .value_kind:     by_value
      - .offset:         4
        .size:           4
        .value_kind:     by_value
      - .offset:         8
        .size:           4
        .value_kind:     by_value
      - .offset:         16
        .size:           8
        .value_kind:     by_value
      - .offset:         24
        .size:           8
        .value_kind:     by_value
      - .offset:         32
        .size:           16
        .value_kind:     by_value
      - .actual_access:  read_only
        .address_space:  global
        .offset:         48
        .size:           8
        .value_kind:     global_buffer
      - .actual_access:  read_only
        .address_space:  global
        .offset:         56
        .size:           8
        .value_kind:     global_buffer
      - .actual_access:  read_only
        .address_space:  global
        .offset:         64
        .size:           8
        .value_kind:     global_buffer
      - .actual_access:  read_only
        .address_space:  global
        .offset:         72
        .size:           8
        .value_kind:     global_buffer
      - .offset:         80
        .size:           8
        .value_kind:     by_value
      - .offset:         88
        .size:           8
        .value_kind:     by_value
      - .offset:         96
        .size:           16
        .value_kind:     by_value
      - .address_space:  global
        .offset:         112
        .size:           8
        .value_kind:     global_buffer
      - .offset:         120
        .size:           8
        .value_kind:     by_value
      - .offset:         128
        .size:           8
        .value_kind:     by_value
      - .offset:         136
        .size:           4
        .value_kind:     by_value
      - .offset:         140
        .size:           4
        .value_kind:     by_value
      - .offset:         144
        .size:           1
        .value_kind:     by_value
      - .offset:         152
        .size:           4
        .value_kind:     hidden_block_count_x
      - .offset:         156
        .size:           4
        .value_kind:     hidden_block_count_y
      - .offset:         160
        .size:           4
        .value_kind:     hidden_block_count_z
      - .offset:         164
        .size:           2
        .value_kind:     hidden_group_size_x
      - .offset:         166
        .size:           2
        .value_kind:     hidden_group_size_y
      - .offset:         168
        .size:           2
        .value_kind:     hidden_group_size_z
      - .offset:         170
        .size:           2
        .value_kind:     hidden_remainder_x
      - .offset:         172
        .size:           2
        .value_kind:     hidden_remainder_y
      - .offset:         174
        .size:           2
        .value_kind:     hidden_remainder_z
      - .offset:         192
        .size:           8
        .value_kind:     hidden_global_offset_x
      - .offset:         200
        .size:           8
        .value_kind:     hidden_global_offset_y
      - .offset:         208
        .size:           8
        .value_kind:     hidden_global_offset_z
      - .offset:         216
        .size:           2
        .value_kind:     hidden_grid_dims
    .group_segment_fixed_size: 3328
    .kernarg_segment_align: 8
    .kernarg_segment_size: 408
    .language:       OpenCL C
    .language_version:
      - 2
      - 0
    .max_flat_workgroup_size: 64
    .name:           _ZN9rocsparseL29bsrmmnt_small_blockdim_kernelILj64ELj8ELj2Eli21rocsparse_complex_numIdES2_S2_S2_EEv20rocsparse_direction_T3_S4_llNS_24const_host_device_scalarIT7_EEPKT2_PKS4_PKT4_PKT5_llS7_PT6_ll16rocsparse_order_21rocsparse_index_base_b
    .private_segment_fixed_size: 0
    .sgpr_count:     25
    .sgpr_spill_count: 0
    .symbol:         _ZN9rocsparseL29bsrmmnt_small_blockdim_kernelILj64ELj8ELj2Eli21rocsparse_complex_numIdES2_S2_S2_EEv20rocsparse_direction_T3_S4_llNS_24const_host_device_scalarIT7_EEPKT2_PKS4_PKT4_PKT5_llS7_PT6_ll16rocsparse_order_21rocsparse_index_base_b.kd
    .uniform_work_group_size: 1
    .uses_dynamic_stack: false
    .vgpr_count:     64
    .vgpr_spill_count: 0
    .wavefront_size: 32
  - .args:
      - .offset:         0
        .size:           4
        .value_kind:     by_value
      - .offset:         4
        .size:           4
        .value_kind:     by_value
      - .offset:         8
        .size:           4
        .value_kind:     by_value
      - .offset:         16
        .size:           8
        .value_kind:     by_value
      - .offset:         24
        .size:           8
        .value_kind:     by_value
      - .offset:         32
        .size:           16
        .value_kind:     by_value
      - .actual_access:  read_only
        .address_space:  global
        .offset:         48
        .size:           8
        .value_kind:     global_buffer
      - .actual_access:  read_only
        .address_space:  global
        .offset:         56
        .size:           8
        .value_kind:     global_buffer
      - .actual_access:  read_only
        .address_space:  global
        .offset:         64
        .size:           8
        .value_kind:     global_buffer
      - .actual_access:  read_only
        .address_space:  global
        .offset:         72
        .size:           8
        .value_kind:     global_buffer
      - .offset:         80
        .size:           8
        .value_kind:     by_value
      - .offset:         88
        .size:           8
        .value_kind:     by_value
      - .offset:         96
        .size:           16
        .value_kind:     by_value
      - .address_space:  global
        .offset:         112
        .size:           8
        .value_kind:     global_buffer
      - .offset:         120
        .size:           8
        .value_kind:     by_value
      - .offset:         128
        .size:           8
        .value_kind:     by_value
      - .offset:         136
        .size:           4
        .value_kind:     by_value
      - .offset:         140
        .size:           4
        .value_kind:     by_value
      - .offset:         144
        .size:           1
        .value_kind:     by_value
      - .offset:         152
        .size:           4
        .value_kind:     hidden_block_count_x
      - .offset:         156
        .size:           4
        .value_kind:     hidden_block_count_y
      - .offset:         160
        .size:           4
        .value_kind:     hidden_block_count_z
      - .offset:         164
        .size:           2
        .value_kind:     hidden_group_size_x
      - .offset:         166
        .size:           2
        .value_kind:     hidden_group_size_y
      - .offset:         168
        .size:           2
        .value_kind:     hidden_group_size_z
      - .offset:         170
        .size:           2
        .value_kind:     hidden_remainder_x
      - .offset:         172
        .size:           2
        .value_kind:     hidden_remainder_y
      - .offset:         174
        .size:           2
        .value_kind:     hidden_remainder_z
      - .offset:         192
        .size:           8
        .value_kind:     hidden_global_offset_x
      - .offset:         200
        .size:           8
        .value_kind:     hidden_global_offset_y
      - .offset:         208
        .size:           8
        .value_kind:     hidden_global_offset_z
      - .offset:         216
        .size:           2
        .value_kind:     hidden_grid_dims
    .group_segment_fixed_size: 3328
    .kernarg_segment_align: 8
    .kernarg_segment_size: 408
    .language:       OpenCL C
    .language_version:
      - 2
      - 0
    .max_flat_workgroup_size: 64
    .name:           _ZN9rocsparseL29bsrmmnt_small_blockdim_kernelILj64ELj16ELj2Eli21rocsparse_complex_numIdES2_S2_S2_EEv20rocsparse_direction_T3_S4_llNS_24const_host_device_scalarIT7_EEPKT2_PKS4_PKT4_PKT5_llS7_PT6_ll16rocsparse_order_21rocsparse_index_base_b
    .private_segment_fixed_size: 0
    .sgpr_count:     25
    .sgpr_spill_count: 0
    .symbol:         _ZN9rocsparseL29bsrmmnt_small_blockdim_kernelILj64ELj16ELj2Eli21rocsparse_complex_numIdES2_S2_S2_EEv20rocsparse_direction_T3_S4_llNS_24const_host_device_scalarIT7_EEPKT2_PKS4_PKT4_PKT5_llS7_PT6_ll16rocsparse_order_21rocsparse_index_base_b.kd
    .uniform_work_group_size: 1
    .uses_dynamic_stack: false
    .vgpr_count:     64
    .vgpr_spill_count: 0
    .wavefront_size: 32
  - .args:
      - .offset:         0
        .size:           4
        .value_kind:     by_value
      - .offset:         4
        .size:           4
        .value_kind:     by_value
      - .offset:         8
        .size:           4
        .value_kind:     by_value
      - .offset:         16
        .size:           8
        .value_kind:     by_value
      - .offset:         24
        .size:           8
        .value_kind:     by_value
      - .offset:         32
        .size:           16
        .value_kind:     by_value
      - .actual_access:  read_only
        .address_space:  global
        .offset:         48
        .size:           8
        .value_kind:     global_buffer
      - .actual_access:  read_only
        .address_space:  global
        .offset:         56
        .size:           8
        .value_kind:     global_buffer
      - .actual_access:  read_only
        .address_space:  global
        .offset:         64
        .size:           8
        .value_kind:     global_buffer
      - .actual_access:  read_only
        .address_space:  global
        .offset:         72
        .size:           8
        .value_kind:     global_buffer
      - .offset:         80
        .size:           8
        .value_kind:     by_value
      - .offset:         88
        .size:           8
        .value_kind:     by_value
      - .offset:         96
        .size:           16
        .value_kind:     by_value
      - .address_space:  global
        .offset:         112
        .size:           8
        .value_kind:     global_buffer
      - .offset:         120
        .size:           8
        .value_kind:     by_value
      - .offset:         128
        .size:           8
        .value_kind:     by_value
      - .offset:         136
        .size:           4
        .value_kind:     by_value
      - .offset:         140
        .size:           4
        .value_kind:     by_value
      - .offset:         144
        .size:           1
        .value_kind:     by_value
      - .offset:         152
        .size:           4
        .value_kind:     hidden_block_count_x
      - .offset:         156
        .size:           4
        .value_kind:     hidden_block_count_y
      - .offset:         160
        .size:           4
        .value_kind:     hidden_block_count_z
      - .offset:         164
        .size:           2
        .value_kind:     hidden_group_size_x
      - .offset:         166
        .size:           2
        .value_kind:     hidden_group_size_y
      - .offset:         168
        .size:           2
        .value_kind:     hidden_group_size_z
      - .offset:         170
        .size:           2
        .value_kind:     hidden_remainder_x
      - .offset:         172
        .size:           2
        .value_kind:     hidden_remainder_y
      - .offset:         174
        .size:           2
        .value_kind:     hidden_remainder_z
      - .offset:         192
        .size:           8
        .value_kind:     hidden_global_offset_x
      - .offset:         200
        .size:           8
        .value_kind:     hidden_global_offset_y
      - .offset:         208
        .size:           8
        .value_kind:     hidden_global_offset_z
      - .offset:         216
        .size:           2
        .value_kind:     hidden_grid_dims
    .group_segment_fixed_size: 3328
    .kernarg_segment_align: 8
    .kernarg_segment_size: 408
    .language:       OpenCL C
    .language_version:
      - 2
      - 0
    .max_flat_workgroup_size: 64
    .name:           _ZN9rocsparseL29bsrmmnt_small_blockdim_kernelILj64ELj32ELj2Eli21rocsparse_complex_numIdES2_S2_S2_EEv20rocsparse_direction_T3_S4_llNS_24const_host_device_scalarIT7_EEPKT2_PKS4_PKT4_PKT5_llS7_PT6_ll16rocsparse_order_21rocsparse_index_base_b
    .private_segment_fixed_size: 0
    .sgpr_count:     25
    .sgpr_spill_count: 0
    .symbol:         _ZN9rocsparseL29bsrmmnt_small_blockdim_kernelILj64ELj32ELj2Eli21rocsparse_complex_numIdES2_S2_S2_EEv20rocsparse_direction_T3_S4_llNS_24const_host_device_scalarIT7_EEPKT2_PKS4_PKT4_PKT5_llS7_PT6_ll16rocsparse_order_21rocsparse_index_base_b.kd
    .uniform_work_group_size: 1
    .uses_dynamic_stack: false
    .vgpr_count:     64
    .vgpr_spill_count: 0
    .wavefront_size: 32
  - .args:
      - .offset:         0
        .size:           4
        .value_kind:     by_value
      - .offset:         4
        .size:           4
        .value_kind:     by_value
      - .offset:         8
        .size:           4
        .value_kind:     by_value
      - .offset:         16
        .size:           8
        .value_kind:     by_value
      - .offset:         24
        .size:           8
        .value_kind:     by_value
      - .offset:         32
        .size:           16
        .value_kind:     by_value
      - .actual_access:  read_only
        .address_space:  global
        .offset:         48
        .size:           8
        .value_kind:     global_buffer
      - .actual_access:  read_only
        .address_space:  global
        .offset:         56
        .size:           8
        .value_kind:     global_buffer
      - .actual_access:  read_only
        .address_space:  global
        .offset:         64
        .size:           8
        .value_kind:     global_buffer
      - .actual_access:  read_only
        .address_space:  global
        .offset:         72
        .size:           8
        .value_kind:     global_buffer
      - .offset:         80
        .size:           8
        .value_kind:     by_value
      - .offset:         88
        .size:           8
        .value_kind:     by_value
      - .offset:         96
        .size:           16
        .value_kind:     by_value
      - .address_space:  global
        .offset:         112
        .size:           8
        .value_kind:     global_buffer
      - .offset:         120
        .size:           8
        .value_kind:     by_value
      - .offset:         128
        .size:           8
        .value_kind:     by_value
      - .offset:         136
        .size:           4
        .value_kind:     by_value
      - .offset:         140
        .size:           4
        .value_kind:     by_value
      - .offset:         144
        .size:           1
        .value_kind:     by_value
      - .offset:         152
        .size:           4
        .value_kind:     hidden_block_count_x
      - .offset:         156
        .size:           4
        .value_kind:     hidden_block_count_y
      - .offset:         160
        .size:           4
        .value_kind:     hidden_block_count_z
      - .offset:         164
        .size:           2
        .value_kind:     hidden_group_size_x
      - .offset:         166
        .size:           2
        .value_kind:     hidden_group_size_y
      - .offset:         168
        .size:           2
        .value_kind:     hidden_group_size_z
      - .offset:         170
        .size:           2
        .value_kind:     hidden_remainder_x
      - .offset:         172
        .size:           2
        .value_kind:     hidden_remainder_y
      - .offset:         174
        .size:           2
        .value_kind:     hidden_remainder_z
      - .offset:         192
        .size:           8
        .value_kind:     hidden_global_offset_x
      - .offset:         200
        .size:           8
        .value_kind:     hidden_global_offset_y
      - .offset:         208
        .size:           8
        .value_kind:     hidden_global_offset_z
      - .offset:         216
        .size:           2
        .value_kind:     hidden_grid_dims
    .group_segment_fixed_size: 3328
    .kernarg_segment_align: 8
    .kernarg_segment_size: 408
    .language:       OpenCL C
    .language_version:
      - 2
      - 0
    .max_flat_workgroup_size: 64
    .name:           _ZN9rocsparseL29bsrmmnt_small_blockdim_kernelILj64ELj64ELj2Eli21rocsparse_complex_numIdES2_S2_S2_EEv20rocsparse_direction_T3_S4_llNS_24const_host_device_scalarIT7_EEPKT2_PKS4_PKT4_PKT5_llS7_PT6_ll16rocsparse_order_21rocsparse_index_base_b
    .private_segment_fixed_size: 0
    .sgpr_count:     25
    .sgpr_spill_count: 0
    .symbol:         _ZN9rocsparseL29bsrmmnt_small_blockdim_kernelILj64ELj64ELj2Eli21rocsparse_complex_numIdES2_S2_S2_EEv20rocsparse_direction_T3_S4_llNS_24const_host_device_scalarIT7_EEPKT2_PKS4_PKT4_PKT5_llS7_PT6_ll16rocsparse_order_21rocsparse_index_base_b.kd
    .uniform_work_group_size: 1
    .uses_dynamic_stack: false
    .vgpr_count:     62
    .vgpr_spill_count: 0
    .wavefront_size: 32
  - .args:
      - .offset:         0
        .size:           4
        .value_kind:     by_value
      - .offset:         8
        .size:           8
        .value_kind:     by_value
      - .offset:         16
        .size:           8
        .value_kind:     by_value
      - .offset:         24
        .size:           8
        .value_kind:     by_value
      - .offset:         32
        .size:           8
        .value_kind:     by_value
      - .offset:         40
        .size:           16
        .value_kind:     by_value
      - .actual_access:  read_only
        .address_space:  global
        .offset:         56
        .size:           8
        .value_kind:     global_buffer
      - .actual_access:  read_only
        .address_space:  global
        .offset:         64
        .size:           8
        .value_kind:     global_buffer
      - .actual_access:  read_only
        .address_space:  global
        .offset:         72
        .size:           8
        .value_kind:     global_buffer
      - .actual_access:  read_only
        .address_space:  global
        .offset:         80
        .size:           8
        .value_kind:     global_buffer
      - .offset:         88
        .size:           8
        .value_kind:     by_value
      - .offset:         96
        .size:           8
        .value_kind:     by_value
      - .offset:         104
        .size:           16
        .value_kind:     by_value
      - .address_space:  global
        .offset:         120
        .size:           8
        .value_kind:     global_buffer
      - .offset:         128
        .size:           8
        .value_kind:     by_value
      - .offset:         136
        .size:           8
        .value_kind:     by_value
      - .offset:         144
        .size:           4
        .value_kind:     by_value
      - .offset:         148
        .size:           4
        .value_kind:     by_value
      - .offset:         152
        .size:           1
        .value_kind:     by_value
      - .offset:         160
        .size:           4
        .value_kind:     hidden_block_count_x
      - .offset:         164
        .size:           4
        .value_kind:     hidden_block_count_y
      - .offset:         168
        .size:           4
        .value_kind:     hidden_block_count_z
      - .offset:         172
        .size:           2
        .value_kind:     hidden_group_size_x
      - .offset:         174
        .size:           2
        .value_kind:     hidden_group_size_y
      - .offset:         176
        .size:           2
        .value_kind:     hidden_group_size_z
      - .offset:         178
        .size:           2
        .value_kind:     hidden_remainder_x
      - .offset:         180
        .size:           2
        .value_kind:     hidden_remainder_y
      - .offset:         182
        .size:           2
        .value_kind:     hidden_remainder_z
      - .offset:         200
        .size:           8
        .value_kind:     hidden_global_offset_x
      - .offset:         208
        .size:           8
        .value_kind:     hidden_global_offset_y
      - .offset:         216
        .size:           8
        .value_kind:     hidden_global_offset_z
      - .offset:         224
        .size:           2
        .value_kind:     hidden_grid_dims
    .group_segment_fixed_size: 3584
    .kernarg_segment_align: 8
    .kernarg_segment_size: 416
    .language:       OpenCL C
    .language_version:
      - 2
      - 0
    .max_flat_workgroup_size: 64
    .name:           _ZN9rocsparseL29bsrmmnt_small_blockdim_kernelILj64ELj8ELj2Ell21rocsparse_complex_numIdES2_S2_S2_EEv20rocsparse_direction_T3_S4_llNS_24const_host_device_scalarIT7_EEPKT2_PKS4_PKT4_PKT5_llS7_PT6_ll16rocsparse_order_21rocsparse_index_base_b
    .private_segment_fixed_size: 0
    .sgpr_count:     29
    .sgpr_spill_count: 0
    .symbol:         _ZN9rocsparseL29bsrmmnt_small_blockdim_kernelILj64ELj8ELj2Ell21rocsparse_complex_numIdES2_S2_S2_EEv20rocsparse_direction_T3_S4_llNS_24const_host_device_scalarIT7_EEPKT2_PKS4_PKT4_PKT5_llS7_PT6_ll16rocsparse_order_21rocsparse_index_base_b.kd
    .uniform_work_group_size: 1
    .uses_dynamic_stack: false
    .vgpr_count:     66
    .vgpr_spill_count: 0
    .wavefront_size: 32
  - .args:
      - .offset:         0
        .size:           4
        .value_kind:     by_value
      - .offset:         8
        .size:           8
        .value_kind:     by_value
      - .offset:         16
        .size:           8
        .value_kind:     by_value
      - .offset:         24
        .size:           8
        .value_kind:     by_value
      - .offset:         32
        .size:           8
        .value_kind:     by_value
      - .offset:         40
        .size:           16
        .value_kind:     by_value
      - .actual_access:  read_only
        .address_space:  global
        .offset:         56
        .size:           8
        .value_kind:     global_buffer
      - .actual_access:  read_only
        .address_space:  global
        .offset:         64
        .size:           8
        .value_kind:     global_buffer
      - .actual_access:  read_only
        .address_space:  global
        .offset:         72
        .size:           8
        .value_kind:     global_buffer
      - .actual_access:  read_only
        .address_space:  global
        .offset:         80
        .size:           8
        .value_kind:     global_buffer
      - .offset:         88
        .size:           8
        .value_kind:     by_value
      - .offset:         96
        .size:           8
        .value_kind:     by_value
      - .offset:         104
        .size:           16
        .value_kind:     by_value
      - .address_space:  global
        .offset:         120
        .size:           8
        .value_kind:     global_buffer
      - .offset:         128
        .size:           8
        .value_kind:     by_value
      - .offset:         136
        .size:           8
        .value_kind:     by_value
      - .offset:         144
        .size:           4
        .value_kind:     by_value
      - .offset:         148
        .size:           4
        .value_kind:     by_value
      - .offset:         152
        .size:           1
        .value_kind:     by_value
      - .offset:         160
        .size:           4
        .value_kind:     hidden_block_count_x
      - .offset:         164
        .size:           4
        .value_kind:     hidden_block_count_y
      - .offset:         168
        .size:           4
        .value_kind:     hidden_block_count_z
      - .offset:         172
        .size:           2
        .value_kind:     hidden_group_size_x
      - .offset:         174
        .size:           2
        .value_kind:     hidden_group_size_y
      - .offset:         176
        .size:           2
        .value_kind:     hidden_group_size_z
      - .offset:         178
        .size:           2
        .value_kind:     hidden_remainder_x
      - .offset:         180
        .size:           2
        .value_kind:     hidden_remainder_y
      - .offset:         182
        .size:           2
        .value_kind:     hidden_remainder_z
      - .offset:         200
        .size:           8
        .value_kind:     hidden_global_offset_x
      - .offset:         208
        .size:           8
        .value_kind:     hidden_global_offset_y
      - .offset:         216
        .size:           8
        .value_kind:     hidden_global_offset_z
      - .offset:         224
        .size:           2
        .value_kind:     hidden_grid_dims
    .group_segment_fixed_size: 3584
    .kernarg_segment_align: 8
    .kernarg_segment_size: 416
    .language:       OpenCL C
    .language_version:
      - 2
      - 0
    .max_flat_workgroup_size: 64
    .name:           _ZN9rocsparseL29bsrmmnt_small_blockdim_kernelILj64ELj16ELj2Ell21rocsparse_complex_numIdES2_S2_S2_EEv20rocsparse_direction_T3_S4_llNS_24const_host_device_scalarIT7_EEPKT2_PKS4_PKT4_PKT5_llS7_PT6_ll16rocsparse_order_21rocsparse_index_base_b
    .private_segment_fixed_size: 0
    .sgpr_count:     29
    .sgpr_spill_count: 0
    .symbol:         _ZN9rocsparseL29bsrmmnt_small_blockdim_kernelILj64ELj16ELj2Ell21rocsparse_complex_numIdES2_S2_S2_EEv20rocsparse_direction_T3_S4_llNS_24const_host_device_scalarIT7_EEPKT2_PKS4_PKT4_PKT5_llS7_PT6_ll16rocsparse_order_21rocsparse_index_base_b.kd
    .uniform_work_group_size: 1
    .uses_dynamic_stack: false
    .vgpr_count:     66
    .vgpr_spill_count: 0
    .wavefront_size: 32
  - .args:
      - .offset:         0
        .size:           4
        .value_kind:     by_value
      - .offset:         8
        .size:           8
        .value_kind:     by_value
      - .offset:         16
        .size:           8
        .value_kind:     by_value
      - .offset:         24
        .size:           8
        .value_kind:     by_value
      - .offset:         32
        .size:           8
        .value_kind:     by_value
      - .offset:         40
        .size:           16
        .value_kind:     by_value
      - .actual_access:  read_only
        .address_space:  global
        .offset:         56
        .size:           8
        .value_kind:     global_buffer
      - .actual_access:  read_only
        .address_space:  global
        .offset:         64
        .size:           8
        .value_kind:     global_buffer
      - .actual_access:  read_only
        .address_space:  global
        .offset:         72
        .size:           8
        .value_kind:     global_buffer
      - .actual_access:  read_only
        .address_space:  global
        .offset:         80
        .size:           8
        .value_kind:     global_buffer
      - .offset:         88
        .size:           8
        .value_kind:     by_value
      - .offset:         96
        .size:           8
        .value_kind:     by_value
      - .offset:         104
        .size:           16
        .value_kind:     by_value
      - .address_space:  global
        .offset:         120
        .size:           8
        .value_kind:     global_buffer
      - .offset:         128
        .size:           8
        .value_kind:     by_value
      - .offset:         136
        .size:           8
        .value_kind:     by_value
      - .offset:         144
        .size:           4
        .value_kind:     by_value
      - .offset:         148
        .size:           4
        .value_kind:     by_value
      - .offset:         152
        .size:           1
        .value_kind:     by_value
      - .offset:         160
        .size:           4
        .value_kind:     hidden_block_count_x
      - .offset:         164
        .size:           4
        .value_kind:     hidden_block_count_y
      - .offset:         168
        .size:           4
        .value_kind:     hidden_block_count_z
      - .offset:         172
        .size:           2
        .value_kind:     hidden_group_size_x
      - .offset:         174
        .size:           2
        .value_kind:     hidden_group_size_y
      - .offset:         176
        .size:           2
        .value_kind:     hidden_group_size_z
      - .offset:         178
        .size:           2
        .value_kind:     hidden_remainder_x
      - .offset:         180
        .size:           2
        .value_kind:     hidden_remainder_y
      - .offset:         182
        .size:           2
        .value_kind:     hidden_remainder_z
      - .offset:         200
        .size:           8
        .value_kind:     hidden_global_offset_x
      - .offset:         208
        .size:           8
        .value_kind:     hidden_global_offset_y
      - .offset:         216
        .size:           8
        .value_kind:     hidden_global_offset_z
      - .offset:         224
        .size:           2
        .value_kind:     hidden_grid_dims
    .group_segment_fixed_size: 3584
    .kernarg_segment_align: 8
    .kernarg_segment_size: 416
    .language:       OpenCL C
    .language_version:
      - 2
      - 0
    .max_flat_workgroup_size: 64
    .name:           _ZN9rocsparseL29bsrmmnt_small_blockdim_kernelILj64ELj32ELj2Ell21rocsparse_complex_numIdES2_S2_S2_EEv20rocsparse_direction_T3_S4_llNS_24const_host_device_scalarIT7_EEPKT2_PKS4_PKT4_PKT5_llS7_PT6_ll16rocsparse_order_21rocsparse_index_base_b
    .private_segment_fixed_size: 0
    .sgpr_count:     29
    .sgpr_spill_count: 0
    .symbol:         _ZN9rocsparseL29bsrmmnt_small_blockdim_kernelILj64ELj32ELj2Ell21rocsparse_complex_numIdES2_S2_S2_EEv20rocsparse_direction_T3_S4_llNS_24const_host_device_scalarIT7_EEPKT2_PKS4_PKT4_PKT5_llS7_PT6_ll16rocsparse_order_21rocsparse_index_base_b.kd
    .uniform_work_group_size: 1
    .uses_dynamic_stack: false
    .vgpr_count:     66
    .vgpr_spill_count: 0
    .wavefront_size: 32
  - .args:
      - .offset:         0
        .size:           4
        .value_kind:     by_value
      - .offset:         8
        .size:           8
        .value_kind:     by_value
      - .offset:         16
        .size:           8
        .value_kind:     by_value
      - .offset:         24
        .size:           8
        .value_kind:     by_value
      - .offset:         32
        .size:           8
        .value_kind:     by_value
      - .offset:         40
        .size:           16
        .value_kind:     by_value
      - .actual_access:  read_only
        .address_space:  global
        .offset:         56
        .size:           8
        .value_kind:     global_buffer
      - .actual_access:  read_only
        .address_space:  global
        .offset:         64
        .size:           8
        .value_kind:     global_buffer
      - .actual_access:  read_only
        .address_space:  global
        .offset:         72
        .size:           8
        .value_kind:     global_buffer
      - .actual_access:  read_only
        .address_space:  global
        .offset:         80
        .size:           8
        .value_kind:     global_buffer
      - .offset:         88
        .size:           8
        .value_kind:     by_value
      - .offset:         96
        .size:           8
        .value_kind:     by_value
      - .offset:         104
        .size:           16
        .value_kind:     by_value
      - .address_space:  global
        .offset:         120
        .size:           8
        .value_kind:     global_buffer
      - .offset:         128
        .size:           8
        .value_kind:     by_value
      - .offset:         136
        .size:           8
        .value_kind:     by_value
      - .offset:         144
        .size:           4
        .value_kind:     by_value
      - .offset:         148
        .size:           4
        .value_kind:     by_value
      - .offset:         152
        .size:           1
        .value_kind:     by_value
      - .offset:         160
        .size:           4
        .value_kind:     hidden_block_count_x
      - .offset:         164
        .size:           4
        .value_kind:     hidden_block_count_y
      - .offset:         168
        .size:           4
        .value_kind:     hidden_block_count_z
      - .offset:         172
        .size:           2
        .value_kind:     hidden_group_size_x
      - .offset:         174
        .size:           2
        .value_kind:     hidden_group_size_y
      - .offset:         176
        .size:           2
        .value_kind:     hidden_group_size_z
      - .offset:         178
        .size:           2
        .value_kind:     hidden_remainder_x
      - .offset:         180
        .size:           2
        .value_kind:     hidden_remainder_y
      - .offset:         182
        .size:           2
        .value_kind:     hidden_remainder_z
      - .offset:         200
        .size:           8
        .value_kind:     hidden_global_offset_x
      - .offset:         208
        .size:           8
        .value_kind:     hidden_global_offset_y
      - .offset:         216
        .size:           8
        .value_kind:     hidden_global_offset_z
      - .offset:         224
        .size:           2
        .value_kind:     hidden_grid_dims
    .group_segment_fixed_size: 3584
    .kernarg_segment_align: 8
    .kernarg_segment_size: 416
    .language:       OpenCL C
    .language_version:
      - 2
      - 0
    .max_flat_workgroup_size: 64
    .name:           _ZN9rocsparseL29bsrmmnt_small_blockdim_kernelILj64ELj64ELj2Ell21rocsparse_complex_numIdES2_S2_S2_EEv20rocsparse_direction_T3_S4_llNS_24const_host_device_scalarIT7_EEPKT2_PKS4_PKT4_PKT5_llS7_PT6_ll16rocsparse_order_21rocsparse_index_base_b
    .private_segment_fixed_size: 0
    .sgpr_count:     29
    .sgpr_spill_count: 0
    .symbol:         _ZN9rocsparseL29bsrmmnt_small_blockdim_kernelILj64ELj64ELj2Ell21rocsparse_complex_numIdES2_S2_S2_EEv20rocsparse_direction_T3_S4_llNS_24const_host_device_scalarIT7_EEPKT2_PKS4_PKT4_PKT5_llS7_PT6_ll16rocsparse_order_21rocsparse_index_base_b.kd
    .uniform_work_group_size: 1
    .uses_dynamic_stack: false
    .vgpr_count:     64
    .vgpr_spill_count: 0
    .wavefront_size: 32
  - .args:
      - .offset:         0
        .size:           4
        .value_kind:     by_value
      - .offset:         4
        .size:           4
        .value_kind:     by_value
      - .offset:         8
        .size:           4
        .value_kind:     by_value
      - .offset:         16
        .size:           8
        .value_kind:     by_value
      - .offset:         24
        .size:           8
        .value_kind:     by_value
      - .offset:         32
        .size:           8
        .value_kind:     by_value
      - .actual_access:  read_only
        .address_space:  global
        .offset:         40
        .size:           8
        .value_kind:     global_buffer
      - .actual_access:  read_only
        .address_space:  global
        .offset:         48
        .size:           8
        .value_kind:     global_buffer
      - .actual_access:  read_only
        .address_space:  global
        .offset:         56
        .size:           8
        .value_kind:     global_buffer
      - .actual_access:  read_only
        .address_space:  global
        .offset:         64
        .size:           8
        .value_kind:     global_buffer
      - .offset:         72
        .size:           8
        .value_kind:     by_value
      - .offset:         80
        .size:           8
        .value_kind:     by_value
      - .offset:         88
        .size:           8
        .value_kind:     by_value
      - .address_space:  global
        .offset:         96
        .size:           8
        .value_kind:     global_buffer
      - .offset:         104
        .size:           8
        .value_kind:     by_value
      - .offset:         112
        .size:           8
        .value_kind:     by_value
      - .offset:         120
        .size:           4
        .value_kind:     by_value
      - .offset:         124
        .size:           4
        .value_kind:     by_value
      - .offset:         128
        .size:           1
        .value_kind:     by_value
      - .offset:         136
        .size:           4
        .value_kind:     hidden_block_count_x
      - .offset:         140
        .size:           4
        .value_kind:     hidden_block_count_y
      - .offset:         144
        .size:           4
        .value_kind:     hidden_block_count_z
      - .offset:         148
        .size:           2
        .value_kind:     hidden_group_size_x
      - .offset:         150
        .size:           2
        .value_kind:     hidden_group_size_y
      - .offset:         152
        .size:           2
        .value_kind:     hidden_group_size_z
      - .offset:         154
        .size:           2
        .value_kind:     hidden_remainder_x
      - .offset:         156
        .size:           2
        .value_kind:     hidden_remainder_y
      - .offset:         158
        .size:           2
        .value_kind:     hidden_remainder_z
      - .offset:         176
        .size:           8
        .value_kind:     hidden_global_offset_x
      - .offset:         184
        .size:           8
        .value_kind:     hidden_global_offset_y
      - .offset:         192
        .size:           8
        .value_kind:     hidden_global_offset_z
      - .offset:         200
        .size:           2
        .value_kind:     hidden_grid_dims
    .group_segment_fixed_size: 640
    .kernarg_segment_align: 8
    .kernarg_segment_size: 392
    .language:       OpenCL C
    .language_version:
      - 2
      - 0
    .max_flat_workgroup_size: 64
    .name:           _ZN9rocsparseL29bsrmmnt_small_blockdim_kernelILj64ELj8ELj2EiiDF16_DF16_ffEEv20rocsparse_direction_T3_S2_llNS_24const_host_device_scalarIT7_EEPKT2_PKS2_PKT4_PKT5_llS5_PT6_ll16rocsparse_order_21rocsparse_index_base_b
    .private_segment_fixed_size: 0
    .sgpr_count:     28
    .sgpr_spill_count: 0
    .symbol:         _ZN9rocsparseL29bsrmmnt_small_blockdim_kernelILj64ELj8ELj2EiiDF16_DF16_ffEEv20rocsparse_direction_T3_S2_llNS_24const_host_device_scalarIT7_EEPKT2_PKS2_PKT4_PKT5_llS5_PT6_ll16rocsparse_order_21rocsparse_index_base_b.kd
    .uniform_work_group_size: 1
    .uses_dynamic_stack: false
    .vgpr_count:     29
    .vgpr_spill_count: 0
    .wavefront_size: 32
  - .args:
      - .offset:         0
        .size:           4
        .value_kind:     by_value
      - .offset:         4
        .size:           4
        .value_kind:     by_value
      - .offset:         8
        .size:           4
        .value_kind:     by_value
      - .offset:         16
        .size:           8
        .value_kind:     by_value
      - .offset:         24
        .size:           8
        .value_kind:     by_value
      - .offset:         32
        .size:           8
        .value_kind:     by_value
      - .actual_access:  read_only
        .address_space:  global
        .offset:         40
        .size:           8
        .value_kind:     global_buffer
      - .actual_access:  read_only
        .address_space:  global
        .offset:         48
        .size:           8
        .value_kind:     global_buffer
      - .actual_access:  read_only
        .address_space:  global
        .offset:         56
        .size:           8
        .value_kind:     global_buffer
      - .actual_access:  read_only
        .address_space:  global
        .offset:         64
        .size:           8
        .value_kind:     global_buffer
      - .offset:         72
        .size:           8
        .value_kind:     by_value
      - .offset:         80
        .size:           8
        .value_kind:     by_value
      - .offset:         88
        .size:           8
        .value_kind:     by_value
      - .address_space:  global
        .offset:         96
        .size:           8
        .value_kind:     global_buffer
      - .offset:         104
        .size:           8
        .value_kind:     by_value
      - .offset:         112
        .size:           8
        .value_kind:     by_value
      - .offset:         120
        .size:           4
        .value_kind:     by_value
      - .offset:         124
        .size:           4
        .value_kind:     by_value
      - .offset:         128
        .size:           1
        .value_kind:     by_value
      - .offset:         136
        .size:           4
        .value_kind:     hidden_block_count_x
      - .offset:         140
        .size:           4
        .value_kind:     hidden_block_count_y
      - .offset:         144
        .size:           4
        .value_kind:     hidden_block_count_z
      - .offset:         148
        .size:           2
        .value_kind:     hidden_group_size_x
      - .offset:         150
        .size:           2
        .value_kind:     hidden_group_size_y
      - .offset:         152
        .size:           2
        .value_kind:     hidden_group_size_z
      - .offset:         154
        .size:           2
        .value_kind:     hidden_remainder_x
      - .offset:         156
        .size:           2
        .value_kind:     hidden_remainder_y
      - .offset:         158
        .size:           2
        .value_kind:     hidden_remainder_z
      - .offset:         176
        .size:           8
        .value_kind:     hidden_global_offset_x
      - .offset:         184
        .size:           8
        .value_kind:     hidden_global_offset_y
      - .offset:         192
        .size:           8
        .value_kind:     hidden_global_offset_z
      - .offset:         200
        .size:           2
        .value_kind:     hidden_grid_dims
    .group_segment_fixed_size: 640
    .kernarg_segment_align: 8
    .kernarg_segment_size: 392
    .language:       OpenCL C
    .language_version:
      - 2
      - 0
    .max_flat_workgroup_size: 64
    .name:           _ZN9rocsparseL29bsrmmnt_small_blockdim_kernelILj64ELj16ELj2EiiDF16_DF16_ffEEv20rocsparse_direction_T3_S2_llNS_24const_host_device_scalarIT7_EEPKT2_PKS2_PKT4_PKT5_llS5_PT6_ll16rocsparse_order_21rocsparse_index_base_b
    .private_segment_fixed_size: 0
    .sgpr_count:     28
    .sgpr_spill_count: 0
    .symbol:         _ZN9rocsparseL29bsrmmnt_small_blockdim_kernelILj64ELj16ELj2EiiDF16_DF16_ffEEv20rocsparse_direction_T3_S2_llNS_24const_host_device_scalarIT7_EEPKT2_PKS2_PKT4_PKT5_llS5_PT6_ll16rocsparse_order_21rocsparse_index_base_b.kd
    .uniform_work_group_size: 1
    .uses_dynamic_stack: false
    .vgpr_count:     29
    .vgpr_spill_count: 0
    .wavefront_size: 32
  - .args:
      - .offset:         0
        .size:           4
        .value_kind:     by_value
      - .offset:         4
        .size:           4
        .value_kind:     by_value
      - .offset:         8
        .size:           4
        .value_kind:     by_value
      - .offset:         16
        .size:           8
        .value_kind:     by_value
      - .offset:         24
        .size:           8
        .value_kind:     by_value
      - .offset:         32
        .size:           8
        .value_kind:     by_value
      - .actual_access:  read_only
        .address_space:  global
        .offset:         40
        .size:           8
        .value_kind:     global_buffer
      - .actual_access:  read_only
        .address_space:  global
        .offset:         48
        .size:           8
        .value_kind:     global_buffer
      - .actual_access:  read_only
        .address_space:  global
        .offset:         56
        .size:           8
        .value_kind:     global_buffer
      - .actual_access:  read_only
        .address_space:  global
        .offset:         64
        .size:           8
        .value_kind:     global_buffer
      - .offset:         72
        .size:           8
        .value_kind:     by_value
      - .offset:         80
        .size:           8
        .value_kind:     by_value
      - .offset:         88
        .size:           8
        .value_kind:     by_value
      - .address_space:  global
        .offset:         96
        .size:           8
        .value_kind:     global_buffer
      - .offset:         104
        .size:           8
        .value_kind:     by_value
      - .offset:         112
        .size:           8
        .value_kind:     by_value
      - .offset:         120
        .size:           4
        .value_kind:     by_value
      - .offset:         124
        .size:           4
        .value_kind:     by_value
      - .offset:         128
        .size:           1
        .value_kind:     by_value
      - .offset:         136
        .size:           4
        .value_kind:     hidden_block_count_x
      - .offset:         140
        .size:           4
        .value_kind:     hidden_block_count_y
      - .offset:         144
        .size:           4
        .value_kind:     hidden_block_count_z
      - .offset:         148
        .size:           2
        .value_kind:     hidden_group_size_x
      - .offset:         150
        .size:           2
        .value_kind:     hidden_group_size_y
      - .offset:         152
        .size:           2
        .value_kind:     hidden_group_size_z
      - .offset:         154
        .size:           2
        .value_kind:     hidden_remainder_x
      - .offset:         156
        .size:           2
        .value_kind:     hidden_remainder_y
      - .offset:         158
        .size:           2
        .value_kind:     hidden_remainder_z
      - .offset:         176
        .size:           8
        .value_kind:     hidden_global_offset_x
      - .offset:         184
        .size:           8
        .value_kind:     hidden_global_offset_y
      - .offset:         192
        .size:           8
        .value_kind:     hidden_global_offset_z
      - .offset:         200
        .size:           2
        .value_kind:     hidden_grid_dims
    .group_segment_fixed_size: 640
    .kernarg_segment_align: 8
    .kernarg_segment_size: 392
    .language:       OpenCL C
    .language_version:
      - 2
      - 0
    .max_flat_workgroup_size: 64
    .name:           _ZN9rocsparseL29bsrmmnt_small_blockdim_kernelILj64ELj32ELj2EiiDF16_DF16_ffEEv20rocsparse_direction_T3_S2_llNS_24const_host_device_scalarIT7_EEPKT2_PKS2_PKT4_PKT5_llS5_PT6_ll16rocsparse_order_21rocsparse_index_base_b
    .private_segment_fixed_size: 0
    .sgpr_count:     28
    .sgpr_spill_count: 0
    .symbol:         _ZN9rocsparseL29bsrmmnt_small_blockdim_kernelILj64ELj32ELj2EiiDF16_DF16_ffEEv20rocsparse_direction_T3_S2_llNS_24const_host_device_scalarIT7_EEPKT2_PKS2_PKT4_PKT5_llS5_PT6_ll16rocsparse_order_21rocsparse_index_base_b.kd
    .uniform_work_group_size: 1
    .uses_dynamic_stack: false
    .vgpr_count:     29
    .vgpr_spill_count: 0
    .wavefront_size: 32
  - .args:
      - .offset:         0
        .size:           4
        .value_kind:     by_value
      - .offset:         4
        .size:           4
        .value_kind:     by_value
      - .offset:         8
        .size:           4
        .value_kind:     by_value
      - .offset:         16
        .size:           8
        .value_kind:     by_value
      - .offset:         24
        .size:           8
        .value_kind:     by_value
      - .offset:         32
        .size:           8
        .value_kind:     by_value
      - .actual_access:  read_only
        .address_space:  global
        .offset:         40
        .size:           8
        .value_kind:     global_buffer
      - .actual_access:  read_only
        .address_space:  global
        .offset:         48
        .size:           8
        .value_kind:     global_buffer
      - .actual_access:  read_only
        .address_space:  global
        .offset:         56
        .size:           8
        .value_kind:     global_buffer
      - .actual_access:  read_only
        .address_space:  global
        .offset:         64
        .size:           8
        .value_kind:     global_buffer
      - .offset:         72
        .size:           8
        .value_kind:     by_value
      - .offset:         80
        .size:           8
        .value_kind:     by_value
      - .offset:         88
        .size:           8
        .value_kind:     by_value
      - .address_space:  global
        .offset:         96
        .size:           8
        .value_kind:     global_buffer
      - .offset:         104
        .size:           8
        .value_kind:     by_value
      - .offset:         112
        .size:           8
        .value_kind:     by_value
      - .offset:         120
        .size:           4
        .value_kind:     by_value
      - .offset:         124
        .size:           4
        .value_kind:     by_value
      - .offset:         128
        .size:           1
        .value_kind:     by_value
      - .offset:         136
        .size:           4
        .value_kind:     hidden_block_count_x
      - .offset:         140
        .size:           4
        .value_kind:     hidden_block_count_y
      - .offset:         144
        .size:           4
        .value_kind:     hidden_block_count_z
      - .offset:         148
        .size:           2
        .value_kind:     hidden_group_size_x
      - .offset:         150
        .size:           2
        .value_kind:     hidden_group_size_y
      - .offset:         152
        .size:           2
        .value_kind:     hidden_group_size_z
      - .offset:         154
        .size:           2
        .value_kind:     hidden_remainder_x
      - .offset:         156
        .size:           2
        .value_kind:     hidden_remainder_y
      - .offset:         158
        .size:           2
        .value_kind:     hidden_remainder_z
      - .offset:         176
        .size:           8
        .value_kind:     hidden_global_offset_x
      - .offset:         184
        .size:           8
        .value_kind:     hidden_global_offset_y
      - .offset:         192
        .size:           8
        .value_kind:     hidden_global_offset_z
      - .offset:         200
        .size:           2
        .value_kind:     hidden_grid_dims
    .group_segment_fixed_size: 640
    .kernarg_segment_align: 8
    .kernarg_segment_size: 392
    .language:       OpenCL C
    .language_version:
      - 2
      - 0
    .max_flat_workgroup_size: 64
    .name:           _ZN9rocsparseL29bsrmmnt_small_blockdim_kernelILj64ELj64ELj2EiiDF16_DF16_ffEEv20rocsparse_direction_T3_S2_llNS_24const_host_device_scalarIT7_EEPKT2_PKS2_PKT4_PKT5_llS5_PT6_ll16rocsparse_order_21rocsparse_index_base_b
    .private_segment_fixed_size: 0
    .sgpr_count:     28
    .sgpr_spill_count: 0
    .symbol:         _ZN9rocsparseL29bsrmmnt_small_blockdim_kernelILj64ELj64ELj2EiiDF16_DF16_ffEEv20rocsparse_direction_T3_S2_llNS_24const_host_device_scalarIT7_EEPKT2_PKS2_PKT4_PKT5_llS5_PT6_ll16rocsparse_order_21rocsparse_index_base_b.kd
    .uniform_work_group_size: 1
    .uses_dynamic_stack: false
    .vgpr_count:     27
    .vgpr_spill_count: 0
    .wavefront_size: 32
  - .args:
      - .offset:         0
        .size:           4
        .value_kind:     by_value
      - .offset:         4
        .size:           4
        .value_kind:     by_value
      - .offset:         8
        .size:           4
        .value_kind:     by_value
      - .offset:         16
        .size:           8
        .value_kind:     by_value
      - .offset:         24
        .size:           8
        .value_kind:     by_value
      - .offset:         32
        .size:           8
        .value_kind:     by_value
      - .actual_access:  read_only
        .address_space:  global
        .offset:         40
        .size:           8
        .value_kind:     global_buffer
      - .actual_access:  read_only
        .address_space:  global
        .offset:         48
        .size:           8
        .value_kind:     global_buffer
      - .actual_access:  read_only
        .address_space:  global
        .offset:         56
        .size:           8
        .value_kind:     global_buffer
      - .actual_access:  read_only
        .address_space:  global
        .offset:         64
        .size:           8
        .value_kind:     global_buffer
      - .offset:         72
        .size:           8
        .value_kind:     by_value
      - .offset:         80
        .size:           8
        .value_kind:     by_value
      - .offset:         88
        .size:           8
        .value_kind:     by_value
      - .address_space:  global
        .offset:         96
        .size:           8
        .value_kind:     global_buffer
      - .offset:         104
        .size:           8
        .value_kind:     by_value
      - .offset:         112
        .size:           8
        .value_kind:     by_value
      - .offset:         120
        .size:           4
        .value_kind:     by_value
      - .offset:         124
        .size:           4
        .value_kind:     by_value
      - .offset:         128
        .size:           1
        .value_kind:     by_value
      - .offset:         136
        .size:           4
        .value_kind:     hidden_block_count_x
      - .offset:         140
        .size:           4
        .value_kind:     hidden_block_count_y
      - .offset:         144
        .size:           4
        .value_kind:     hidden_block_count_z
      - .offset:         148
        .size:           2
        .value_kind:     hidden_group_size_x
      - .offset:         150
        .size:           2
        .value_kind:     hidden_group_size_y
      - .offset:         152
        .size:           2
        .value_kind:     hidden_group_size_z
      - .offset:         154
        .size:           2
        .value_kind:     hidden_remainder_x
      - .offset:         156
        .size:           2
        .value_kind:     hidden_remainder_y
      - .offset:         158
        .size:           2
        .value_kind:     hidden_remainder_z
      - .offset:         176
        .size:           8
        .value_kind:     hidden_global_offset_x
      - .offset:         184
        .size:           8
        .value_kind:     hidden_global_offset_y
      - .offset:         192
        .size:           8
        .value_kind:     hidden_global_offset_z
      - .offset:         200
        .size:           2
        .value_kind:     hidden_grid_dims
    .group_segment_fixed_size: 640
    .kernarg_segment_align: 8
    .kernarg_segment_size: 392
    .language:       OpenCL C
    .language_version:
      - 2
      - 0
    .max_flat_workgroup_size: 64
    .name:           _ZN9rocsparseL29bsrmmnt_small_blockdim_kernelILj64ELj8ELj2EliDF16_DF16_ffEEv20rocsparse_direction_T3_S2_llNS_24const_host_device_scalarIT7_EEPKT2_PKS2_PKT4_PKT5_llS5_PT6_ll16rocsparse_order_21rocsparse_index_base_b
    .private_segment_fixed_size: 0
    .sgpr_count:     28
    .sgpr_spill_count: 0
    .symbol:         _ZN9rocsparseL29bsrmmnt_small_blockdim_kernelILj64ELj8ELj2EliDF16_DF16_ffEEv20rocsparse_direction_T3_S2_llNS_24const_host_device_scalarIT7_EEPKT2_PKS2_PKT4_PKT5_llS5_PT6_ll16rocsparse_order_21rocsparse_index_base_b.kd
    .uniform_work_group_size: 1
    .uses_dynamic_stack: false
    .vgpr_count:     34
    .vgpr_spill_count: 0
    .wavefront_size: 32
  - .args:
      - .offset:         0
        .size:           4
        .value_kind:     by_value
      - .offset:         4
        .size:           4
        .value_kind:     by_value
      - .offset:         8
        .size:           4
        .value_kind:     by_value
      - .offset:         16
        .size:           8
        .value_kind:     by_value
      - .offset:         24
        .size:           8
        .value_kind:     by_value
      - .offset:         32
        .size:           8
        .value_kind:     by_value
      - .actual_access:  read_only
        .address_space:  global
        .offset:         40
        .size:           8
        .value_kind:     global_buffer
      - .actual_access:  read_only
        .address_space:  global
        .offset:         48
        .size:           8
        .value_kind:     global_buffer
      - .actual_access:  read_only
        .address_space:  global
        .offset:         56
        .size:           8
        .value_kind:     global_buffer
      - .actual_access:  read_only
        .address_space:  global
        .offset:         64
        .size:           8
        .value_kind:     global_buffer
      - .offset:         72
        .size:           8
        .value_kind:     by_value
      - .offset:         80
        .size:           8
        .value_kind:     by_value
      - .offset:         88
        .size:           8
        .value_kind:     by_value
      - .address_space:  global
        .offset:         96
        .size:           8
        .value_kind:     global_buffer
      - .offset:         104
        .size:           8
        .value_kind:     by_value
      - .offset:         112
        .size:           8
        .value_kind:     by_value
      - .offset:         120
        .size:           4
        .value_kind:     by_value
      - .offset:         124
        .size:           4
        .value_kind:     by_value
      - .offset:         128
        .size:           1
        .value_kind:     by_value
      - .offset:         136
        .size:           4
        .value_kind:     hidden_block_count_x
      - .offset:         140
        .size:           4
        .value_kind:     hidden_block_count_y
      - .offset:         144
        .size:           4
        .value_kind:     hidden_block_count_z
      - .offset:         148
        .size:           2
        .value_kind:     hidden_group_size_x
      - .offset:         150
        .size:           2
        .value_kind:     hidden_group_size_y
      - .offset:         152
        .size:           2
        .value_kind:     hidden_group_size_z
      - .offset:         154
        .size:           2
        .value_kind:     hidden_remainder_x
      - .offset:         156
        .size:           2
        .value_kind:     hidden_remainder_y
      - .offset:         158
        .size:           2
        .value_kind:     hidden_remainder_z
      - .offset:         176
        .size:           8
        .value_kind:     hidden_global_offset_x
      - .offset:         184
        .size:           8
        .value_kind:     hidden_global_offset_y
      - .offset:         192
        .size:           8
        .value_kind:     hidden_global_offset_z
      - .offset:         200
        .size:           2
        .value_kind:     hidden_grid_dims
    .group_segment_fixed_size: 640
    .kernarg_segment_align: 8
    .kernarg_segment_size: 392
    .language:       OpenCL C
    .language_version:
      - 2
      - 0
    .max_flat_workgroup_size: 64
    .name:           _ZN9rocsparseL29bsrmmnt_small_blockdim_kernelILj64ELj16ELj2EliDF16_DF16_ffEEv20rocsparse_direction_T3_S2_llNS_24const_host_device_scalarIT7_EEPKT2_PKS2_PKT4_PKT5_llS5_PT6_ll16rocsparse_order_21rocsparse_index_base_b
    .private_segment_fixed_size: 0
    .sgpr_count:     28
    .sgpr_spill_count: 0
    .symbol:         _ZN9rocsparseL29bsrmmnt_small_blockdim_kernelILj64ELj16ELj2EliDF16_DF16_ffEEv20rocsparse_direction_T3_S2_llNS_24const_host_device_scalarIT7_EEPKT2_PKS2_PKT4_PKT5_llS5_PT6_ll16rocsparse_order_21rocsparse_index_base_b.kd
    .uniform_work_group_size: 1
    .uses_dynamic_stack: false
    .vgpr_count:     34
    .vgpr_spill_count: 0
    .wavefront_size: 32
  - .args:
      - .offset:         0
        .size:           4
        .value_kind:     by_value
      - .offset:         4
        .size:           4
        .value_kind:     by_value
      - .offset:         8
        .size:           4
        .value_kind:     by_value
      - .offset:         16
        .size:           8
        .value_kind:     by_value
      - .offset:         24
        .size:           8
        .value_kind:     by_value
      - .offset:         32
        .size:           8
        .value_kind:     by_value
      - .actual_access:  read_only
        .address_space:  global
        .offset:         40
        .size:           8
        .value_kind:     global_buffer
      - .actual_access:  read_only
        .address_space:  global
        .offset:         48
        .size:           8
        .value_kind:     global_buffer
      - .actual_access:  read_only
        .address_space:  global
        .offset:         56
        .size:           8
        .value_kind:     global_buffer
      - .actual_access:  read_only
        .address_space:  global
        .offset:         64
        .size:           8
        .value_kind:     global_buffer
      - .offset:         72
        .size:           8
        .value_kind:     by_value
      - .offset:         80
        .size:           8
        .value_kind:     by_value
      - .offset:         88
        .size:           8
        .value_kind:     by_value
      - .address_space:  global
        .offset:         96
        .size:           8
        .value_kind:     global_buffer
      - .offset:         104
        .size:           8
        .value_kind:     by_value
      - .offset:         112
        .size:           8
        .value_kind:     by_value
      - .offset:         120
        .size:           4
        .value_kind:     by_value
      - .offset:         124
        .size:           4
        .value_kind:     by_value
      - .offset:         128
        .size:           1
        .value_kind:     by_value
      - .offset:         136
        .size:           4
        .value_kind:     hidden_block_count_x
      - .offset:         140
        .size:           4
        .value_kind:     hidden_block_count_y
      - .offset:         144
        .size:           4
        .value_kind:     hidden_block_count_z
      - .offset:         148
        .size:           2
        .value_kind:     hidden_group_size_x
      - .offset:         150
        .size:           2
        .value_kind:     hidden_group_size_y
      - .offset:         152
        .size:           2
        .value_kind:     hidden_group_size_z
      - .offset:         154
        .size:           2
        .value_kind:     hidden_remainder_x
      - .offset:         156
        .size:           2
        .value_kind:     hidden_remainder_y
      - .offset:         158
        .size:           2
        .value_kind:     hidden_remainder_z
      - .offset:         176
        .size:           8
        .value_kind:     hidden_global_offset_x
      - .offset:         184
        .size:           8
        .value_kind:     hidden_global_offset_y
      - .offset:         192
        .size:           8
        .value_kind:     hidden_global_offset_z
      - .offset:         200
        .size:           2
        .value_kind:     hidden_grid_dims
    .group_segment_fixed_size: 640
    .kernarg_segment_align: 8
    .kernarg_segment_size: 392
    .language:       OpenCL C
    .language_version:
      - 2
      - 0
    .max_flat_workgroup_size: 64
    .name:           _ZN9rocsparseL29bsrmmnt_small_blockdim_kernelILj64ELj32ELj2EliDF16_DF16_ffEEv20rocsparse_direction_T3_S2_llNS_24const_host_device_scalarIT7_EEPKT2_PKS2_PKT4_PKT5_llS5_PT6_ll16rocsparse_order_21rocsparse_index_base_b
    .private_segment_fixed_size: 0
    .sgpr_count:     28
    .sgpr_spill_count: 0
    .symbol:         _ZN9rocsparseL29bsrmmnt_small_blockdim_kernelILj64ELj32ELj2EliDF16_DF16_ffEEv20rocsparse_direction_T3_S2_llNS_24const_host_device_scalarIT7_EEPKT2_PKS2_PKT4_PKT5_llS5_PT6_ll16rocsparse_order_21rocsparse_index_base_b.kd
    .uniform_work_group_size: 1
    .uses_dynamic_stack: false
    .vgpr_count:     34
    .vgpr_spill_count: 0
    .wavefront_size: 32
  - .args:
      - .offset:         0
        .size:           4
        .value_kind:     by_value
      - .offset:         4
        .size:           4
        .value_kind:     by_value
      - .offset:         8
        .size:           4
        .value_kind:     by_value
      - .offset:         16
        .size:           8
        .value_kind:     by_value
      - .offset:         24
        .size:           8
        .value_kind:     by_value
      - .offset:         32
        .size:           8
        .value_kind:     by_value
      - .actual_access:  read_only
        .address_space:  global
        .offset:         40
        .size:           8
        .value_kind:     global_buffer
      - .actual_access:  read_only
        .address_space:  global
        .offset:         48
        .size:           8
        .value_kind:     global_buffer
      - .actual_access:  read_only
        .address_space:  global
        .offset:         56
        .size:           8
        .value_kind:     global_buffer
      - .actual_access:  read_only
        .address_space:  global
        .offset:         64
        .size:           8
        .value_kind:     global_buffer
      - .offset:         72
        .size:           8
        .value_kind:     by_value
      - .offset:         80
        .size:           8
        .value_kind:     by_value
      - .offset:         88
        .size:           8
        .value_kind:     by_value
      - .address_space:  global
        .offset:         96
        .size:           8
        .value_kind:     global_buffer
      - .offset:         104
        .size:           8
        .value_kind:     by_value
      - .offset:         112
        .size:           8
        .value_kind:     by_value
      - .offset:         120
        .size:           4
        .value_kind:     by_value
      - .offset:         124
        .size:           4
        .value_kind:     by_value
      - .offset:         128
        .size:           1
        .value_kind:     by_value
      - .offset:         136
        .size:           4
        .value_kind:     hidden_block_count_x
      - .offset:         140
        .size:           4
        .value_kind:     hidden_block_count_y
      - .offset:         144
        .size:           4
        .value_kind:     hidden_block_count_z
      - .offset:         148
        .size:           2
        .value_kind:     hidden_group_size_x
      - .offset:         150
        .size:           2
        .value_kind:     hidden_group_size_y
      - .offset:         152
        .size:           2
        .value_kind:     hidden_group_size_z
      - .offset:         154
        .size:           2
        .value_kind:     hidden_remainder_x
      - .offset:         156
        .size:           2
        .value_kind:     hidden_remainder_y
      - .offset:         158
        .size:           2
        .value_kind:     hidden_remainder_z
      - .offset:         176
        .size:           8
        .value_kind:     hidden_global_offset_x
      - .offset:         184
        .size:           8
        .value_kind:     hidden_global_offset_y
      - .offset:         192
        .size:           8
        .value_kind:     hidden_global_offset_z
      - .offset:         200
        .size:           2
        .value_kind:     hidden_grid_dims
    .group_segment_fixed_size: 640
    .kernarg_segment_align: 8
    .kernarg_segment_size: 392
    .language:       OpenCL C
    .language_version:
      - 2
      - 0
    .max_flat_workgroup_size: 64
    .name:           _ZN9rocsparseL29bsrmmnt_small_blockdim_kernelILj64ELj64ELj2EliDF16_DF16_ffEEv20rocsparse_direction_T3_S2_llNS_24const_host_device_scalarIT7_EEPKT2_PKS2_PKT4_PKT5_llS5_PT6_ll16rocsparse_order_21rocsparse_index_base_b
    .private_segment_fixed_size: 0
    .sgpr_count:     28
    .sgpr_spill_count: 0
    .symbol:         _ZN9rocsparseL29bsrmmnt_small_blockdim_kernelILj64ELj64ELj2EliDF16_DF16_ffEEv20rocsparse_direction_T3_S2_llNS_24const_host_device_scalarIT7_EEPKT2_PKS2_PKT4_PKT5_llS5_PT6_ll16rocsparse_order_21rocsparse_index_base_b.kd
    .uniform_work_group_size: 1
    .uses_dynamic_stack: false
    .vgpr_count:     32
    .vgpr_spill_count: 0
    .wavefront_size: 32
  - .args:
      - .offset:         0
        .size:           4
        .value_kind:     by_value
      - .offset:         8
        .size:           8
        .value_kind:     by_value
      - .offset:         16
        .size:           8
        .value_kind:     by_value
      - .offset:         24
        .size:           8
        .value_kind:     by_value
      - .offset:         32
        .size:           8
        .value_kind:     by_value
      - .offset:         40
        .size:           8
        .value_kind:     by_value
      - .actual_access:  read_only
        .address_space:  global
        .offset:         48
        .size:           8
        .value_kind:     global_buffer
      - .actual_access:  read_only
        .address_space:  global
        .offset:         56
        .size:           8
        .value_kind:     global_buffer
      - .actual_access:  read_only
        .address_space:  global
        .offset:         64
        .size:           8
        .value_kind:     global_buffer
      - .actual_access:  read_only
        .address_space:  global
        .offset:         72
        .size:           8
        .value_kind:     global_buffer
      - .offset:         80
        .size:           8
        .value_kind:     by_value
      - .offset:         88
        .size:           8
        .value_kind:     by_value
      - .offset:         96
        .size:           8
        .value_kind:     by_value
      - .address_space:  global
        .offset:         104
        .size:           8
        .value_kind:     global_buffer
      - .offset:         112
        .size:           8
        .value_kind:     by_value
      - .offset:         120
        .size:           8
        .value_kind:     by_value
      - .offset:         128
        .size:           4
        .value_kind:     by_value
      - .offset:         132
        .size:           4
        .value_kind:     by_value
      - .offset:         136
        .size:           1
        .value_kind:     by_value
      - .offset:         144
        .size:           4
        .value_kind:     hidden_block_count_x
      - .offset:         148
        .size:           4
        .value_kind:     hidden_block_count_y
      - .offset:         152
        .size:           4
        .value_kind:     hidden_block_count_z
      - .offset:         156
        .size:           2
        .value_kind:     hidden_group_size_x
      - .offset:         158
        .size:           2
        .value_kind:     hidden_group_size_y
      - .offset:         160
        .size:           2
        .value_kind:     hidden_group_size_z
      - .offset:         162
        .size:           2
        .value_kind:     hidden_remainder_x
      - .offset:         164
        .size:           2
        .value_kind:     hidden_remainder_y
      - .offset:         166
        .size:           2
        .value_kind:     hidden_remainder_z
      - .offset:         184
        .size:           8
        .value_kind:     hidden_global_offset_x
      - .offset:         192
        .size:           8
        .value_kind:     hidden_global_offset_y
      - .offset:         200
        .size:           8
        .value_kind:     hidden_global_offset_z
      - .offset:         208
        .size:           2
        .value_kind:     hidden_grid_dims
    .group_segment_fixed_size: 896
    .kernarg_segment_align: 8
    .kernarg_segment_size: 400
    .language:       OpenCL C
    .language_version:
      - 2
      - 0
    .max_flat_workgroup_size: 64
    .name:           _ZN9rocsparseL29bsrmmnt_small_blockdim_kernelILj64ELj8ELj2EllDF16_DF16_ffEEv20rocsparse_direction_T3_S2_llNS_24const_host_device_scalarIT7_EEPKT2_PKS2_PKT4_PKT5_llS5_PT6_ll16rocsparse_order_21rocsparse_index_base_b
    .private_segment_fixed_size: 0
    .sgpr_count:     29
    .sgpr_spill_count: 0
    .symbol:         _ZN9rocsparseL29bsrmmnt_small_blockdim_kernelILj64ELj8ELj2EllDF16_DF16_ffEEv20rocsparse_direction_T3_S2_llNS_24const_host_device_scalarIT7_EEPKT2_PKS2_PKT4_PKT5_llS5_PT6_ll16rocsparse_order_21rocsparse_index_base_b.kd
    .uniform_work_group_size: 1
    .uses_dynamic_stack: false
    .vgpr_count:     32
    .vgpr_spill_count: 0
    .wavefront_size: 32
  - .args:
      - .offset:         0
        .size:           4
        .value_kind:     by_value
      - .offset:         8
        .size:           8
        .value_kind:     by_value
      - .offset:         16
        .size:           8
        .value_kind:     by_value
      - .offset:         24
        .size:           8
        .value_kind:     by_value
      - .offset:         32
        .size:           8
        .value_kind:     by_value
      - .offset:         40
        .size:           8
        .value_kind:     by_value
      - .actual_access:  read_only
        .address_space:  global
        .offset:         48
        .size:           8
        .value_kind:     global_buffer
      - .actual_access:  read_only
        .address_space:  global
        .offset:         56
        .size:           8
        .value_kind:     global_buffer
      - .actual_access:  read_only
        .address_space:  global
        .offset:         64
        .size:           8
        .value_kind:     global_buffer
      - .actual_access:  read_only
        .address_space:  global
        .offset:         72
        .size:           8
        .value_kind:     global_buffer
      - .offset:         80
        .size:           8
        .value_kind:     by_value
      - .offset:         88
        .size:           8
        .value_kind:     by_value
      - .offset:         96
        .size:           8
        .value_kind:     by_value
      - .address_space:  global
        .offset:         104
        .size:           8
        .value_kind:     global_buffer
      - .offset:         112
        .size:           8
        .value_kind:     by_value
      - .offset:         120
        .size:           8
        .value_kind:     by_value
      - .offset:         128
        .size:           4
        .value_kind:     by_value
      - .offset:         132
        .size:           4
        .value_kind:     by_value
      - .offset:         136
        .size:           1
        .value_kind:     by_value
      - .offset:         144
        .size:           4
        .value_kind:     hidden_block_count_x
      - .offset:         148
        .size:           4
        .value_kind:     hidden_block_count_y
      - .offset:         152
        .size:           4
        .value_kind:     hidden_block_count_z
      - .offset:         156
        .size:           2
        .value_kind:     hidden_group_size_x
      - .offset:         158
        .size:           2
        .value_kind:     hidden_group_size_y
      - .offset:         160
        .size:           2
        .value_kind:     hidden_group_size_z
      - .offset:         162
        .size:           2
        .value_kind:     hidden_remainder_x
      - .offset:         164
        .size:           2
        .value_kind:     hidden_remainder_y
      - .offset:         166
        .size:           2
        .value_kind:     hidden_remainder_z
      - .offset:         184
        .size:           8
        .value_kind:     hidden_global_offset_x
      - .offset:         192
        .size:           8
        .value_kind:     hidden_global_offset_y
      - .offset:         200
        .size:           8
        .value_kind:     hidden_global_offset_z
      - .offset:         208
        .size:           2
        .value_kind:     hidden_grid_dims
    .group_segment_fixed_size: 896
    .kernarg_segment_align: 8
    .kernarg_segment_size: 400
    .language:       OpenCL C
    .language_version:
      - 2
      - 0
    .max_flat_workgroup_size: 64
    .name:           _ZN9rocsparseL29bsrmmnt_small_blockdim_kernelILj64ELj16ELj2EllDF16_DF16_ffEEv20rocsparse_direction_T3_S2_llNS_24const_host_device_scalarIT7_EEPKT2_PKS2_PKT4_PKT5_llS5_PT6_ll16rocsparse_order_21rocsparse_index_base_b
    .private_segment_fixed_size: 0
    .sgpr_count:     29
    .sgpr_spill_count: 0
    .symbol:         _ZN9rocsparseL29bsrmmnt_small_blockdim_kernelILj64ELj16ELj2EllDF16_DF16_ffEEv20rocsparse_direction_T3_S2_llNS_24const_host_device_scalarIT7_EEPKT2_PKS2_PKT4_PKT5_llS5_PT6_ll16rocsparse_order_21rocsparse_index_base_b.kd
    .uniform_work_group_size: 1
    .uses_dynamic_stack: false
    .vgpr_count:     32
    .vgpr_spill_count: 0
    .wavefront_size: 32
  - .args:
      - .offset:         0
        .size:           4
        .value_kind:     by_value
      - .offset:         8
        .size:           8
        .value_kind:     by_value
      - .offset:         16
        .size:           8
        .value_kind:     by_value
      - .offset:         24
        .size:           8
        .value_kind:     by_value
      - .offset:         32
        .size:           8
        .value_kind:     by_value
      - .offset:         40
        .size:           8
        .value_kind:     by_value
      - .actual_access:  read_only
        .address_space:  global
        .offset:         48
        .size:           8
        .value_kind:     global_buffer
      - .actual_access:  read_only
        .address_space:  global
        .offset:         56
        .size:           8
        .value_kind:     global_buffer
      - .actual_access:  read_only
        .address_space:  global
        .offset:         64
        .size:           8
        .value_kind:     global_buffer
      - .actual_access:  read_only
        .address_space:  global
        .offset:         72
        .size:           8
        .value_kind:     global_buffer
      - .offset:         80
        .size:           8
        .value_kind:     by_value
      - .offset:         88
        .size:           8
        .value_kind:     by_value
      - .offset:         96
        .size:           8
        .value_kind:     by_value
      - .address_space:  global
        .offset:         104
        .size:           8
        .value_kind:     global_buffer
      - .offset:         112
        .size:           8
        .value_kind:     by_value
      - .offset:         120
        .size:           8
        .value_kind:     by_value
      - .offset:         128
        .size:           4
        .value_kind:     by_value
      - .offset:         132
        .size:           4
        .value_kind:     by_value
      - .offset:         136
        .size:           1
        .value_kind:     by_value
      - .offset:         144
        .size:           4
        .value_kind:     hidden_block_count_x
      - .offset:         148
        .size:           4
        .value_kind:     hidden_block_count_y
      - .offset:         152
        .size:           4
        .value_kind:     hidden_block_count_z
      - .offset:         156
        .size:           2
        .value_kind:     hidden_group_size_x
      - .offset:         158
        .size:           2
        .value_kind:     hidden_group_size_y
      - .offset:         160
        .size:           2
        .value_kind:     hidden_group_size_z
      - .offset:         162
        .size:           2
        .value_kind:     hidden_remainder_x
      - .offset:         164
        .size:           2
        .value_kind:     hidden_remainder_y
      - .offset:         166
        .size:           2
        .value_kind:     hidden_remainder_z
      - .offset:         184
        .size:           8
        .value_kind:     hidden_global_offset_x
      - .offset:         192
        .size:           8
        .value_kind:     hidden_global_offset_y
      - .offset:         200
        .size:           8
        .value_kind:     hidden_global_offset_z
      - .offset:         208
        .size:           2
        .value_kind:     hidden_grid_dims
    .group_segment_fixed_size: 896
    .kernarg_segment_align: 8
    .kernarg_segment_size: 400
    .language:       OpenCL C
    .language_version:
      - 2
      - 0
    .max_flat_workgroup_size: 64
    .name:           _ZN9rocsparseL29bsrmmnt_small_blockdim_kernelILj64ELj32ELj2EllDF16_DF16_ffEEv20rocsparse_direction_T3_S2_llNS_24const_host_device_scalarIT7_EEPKT2_PKS2_PKT4_PKT5_llS5_PT6_ll16rocsparse_order_21rocsparse_index_base_b
    .private_segment_fixed_size: 0
    .sgpr_count:     29
    .sgpr_spill_count: 0
    .symbol:         _ZN9rocsparseL29bsrmmnt_small_blockdim_kernelILj64ELj32ELj2EllDF16_DF16_ffEEv20rocsparse_direction_T3_S2_llNS_24const_host_device_scalarIT7_EEPKT2_PKS2_PKT4_PKT5_llS5_PT6_ll16rocsparse_order_21rocsparse_index_base_b.kd
    .uniform_work_group_size: 1
    .uses_dynamic_stack: false
    .vgpr_count:     32
    .vgpr_spill_count: 0
    .wavefront_size: 32
  - .args:
      - .offset:         0
        .size:           4
        .value_kind:     by_value
      - .offset:         8
        .size:           8
        .value_kind:     by_value
      - .offset:         16
        .size:           8
        .value_kind:     by_value
      - .offset:         24
        .size:           8
        .value_kind:     by_value
      - .offset:         32
        .size:           8
        .value_kind:     by_value
      - .offset:         40
        .size:           8
        .value_kind:     by_value
      - .actual_access:  read_only
        .address_space:  global
        .offset:         48
        .size:           8
        .value_kind:     global_buffer
      - .actual_access:  read_only
        .address_space:  global
        .offset:         56
        .size:           8
        .value_kind:     global_buffer
      - .actual_access:  read_only
        .address_space:  global
        .offset:         64
        .size:           8
        .value_kind:     global_buffer
      - .actual_access:  read_only
        .address_space:  global
        .offset:         72
        .size:           8
        .value_kind:     global_buffer
      - .offset:         80
        .size:           8
        .value_kind:     by_value
      - .offset:         88
        .size:           8
        .value_kind:     by_value
      - .offset:         96
        .size:           8
        .value_kind:     by_value
      - .address_space:  global
        .offset:         104
        .size:           8
        .value_kind:     global_buffer
      - .offset:         112
        .size:           8
        .value_kind:     by_value
      - .offset:         120
        .size:           8
        .value_kind:     by_value
      - .offset:         128
        .size:           4
        .value_kind:     by_value
      - .offset:         132
        .size:           4
        .value_kind:     by_value
      - .offset:         136
        .size:           1
        .value_kind:     by_value
      - .offset:         144
        .size:           4
        .value_kind:     hidden_block_count_x
      - .offset:         148
        .size:           4
        .value_kind:     hidden_block_count_y
      - .offset:         152
        .size:           4
        .value_kind:     hidden_block_count_z
      - .offset:         156
        .size:           2
        .value_kind:     hidden_group_size_x
      - .offset:         158
        .size:           2
        .value_kind:     hidden_group_size_y
      - .offset:         160
        .size:           2
        .value_kind:     hidden_group_size_z
      - .offset:         162
        .size:           2
        .value_kind:     hidden_remainder_x
      - .offset:         164
        .size:           2
        .value_kind:     hidden_remainder_y
      - .offset:         166
        .size:           2
        .value_kind:     hidden_remainder_z
      - .offset:         184
        .size:           8
        .value_kind:     hidden_global_offset_x
      - .offset:         192
        .size:           8
        .value_kind:     hidden_global_offset_y
      - .offset:         200
        .size:           8
        .value_kind:     hidden_global_offset_z
      - .offset:         208
        .size:           2
        .value_kind:     hidden_grid_dims
    .group_segment_fixed_size: 896
    .kernarg_segment_align: 8
    .kernarg_segment_size: 400
    .language:       OpenCL C
    .language_version:
      - 2
      - 0
    .max_flat_workgroup_size: 64
    .name:           _ZN9rocsparseL29bsrmmnt_small_blockdim_kernelILj64ELj64ELj2EllDF16_DF16_ffEEv20rocsparse_direction_T3_S2_llNS_24const_host_device_scalarIT7_EEPKT2_PKS2_PKT4_PKT5_llS5_PT6_ll16rocsparse_order_21rocsparse_index_base_b
    .private_segment_fixed_size: 0
    .sgpr_count:     29
    .sgpr_spill_count: 0
    .symbol:         _ZN9rocsparseL29bsrmmnt_small_blockdim_kernelILj64ELj64ELj2EllDF16_DF16_ffEEv20rocsparse_direction_T3_S2_llNS_24const_host_device_scalarIT7_EEPKT2_PKS2_PKT4_PKT5_llS5_PT6_ll16rocsparse_order_21rocsparse_index_base_b.kd
    .uniform_work_group_size: 1
    .uses_dynamic_stack: false
    .vgpr_count:     30
    .vgpr_spill_count: 0
    .wavefront_size: 32
  - .args:
      - .offset:         0
        .size:           4
        .value_kind:     by_value
      - .offset:         4
        .size:           4
        .value_kind:     by_value
      - .offset:         8
        .size:           4
        .value_kind:     by_value
      - .offset:         16
        .size:           8
        .value_kind:     by_value
      - .offset:         24
        .size:           8
        .value_kind:     by_value
      - .offset:         32
        .size:           8
        .value_kind:     by_value
      - .actual_access:  read_only
        .address_space:  global
        .offset:         40
        .size:           8
        .value_kind:     global_buffer
      - .actual_access:  read_only
        .address_space:  global
        .offset:         48
        .size:           8
        .value_kind:     global_buffer
      - .actual_access:  read_only
        .address_space:  global
        .offset:         56
        .size:           8
        .value_kind:     global_buffer
      - .actual_access:  read_only
        .address_space:  global
        .offset:         64
        .size:           8
        .value_kind:     global_buffer
      - .offset:         72
        .size:           8
        .value_kind:     by_value
      - .offset:         80
        .size:           8
        .value_kind:     by_value
      - .offset:         88
        .size:           8
        .value_kind:     by_value
      - .address_space:  global
        .offset:         96
        .size:           8
        .value_kind:     global_buffer
      - .offset:         104
        .size:           8
        .value_kind:     by_value
      - .offset:         112
        .size:           8
        .value_kind:     by_value
      - .offset:         120
        .size:           4
        .value_kind:     by_value
      - .offset:         124
        .size:           4
        .value_kind:     by_value
      - .offset:         128
        .size:           1
        .value_kind:     by_value
      - .offset:         136
        .size:           4
        .value_kind:     hidden_block_count_x
      - .offset:         140
        .size:           4
        .value_kind:     hidden_block_count_y
      - .offset:         144
        .size:           4
        .value_kind:     hidden_block_count_z
      - .offset:         148
        .size:           2
        .value_kind:     hidden_group_size_x
      - .offset:         150
        .size:           2
        .value_kind:     hidden_group_size_y
      - .offset:         152
        .size:           2
        .value_kind:     hidden_group_size_z
      - .offset:         154
        .size:           2
        .value_kind:     hidden_remainder_x
      - .offset:         156
        .size:           2
        .value_kind:     hidden_remainder_y
      - .offset:         158
        .size:           2
        .value_kind:     hidden_remainder_z
      - .offset:         176
        .size:           8
        .value_kind:     hidden_global_offset_x
      - .offset:         184
        .size:           8
        .value_kind:     hidden_global_offset_y
      - .offset:         192
        .size:           8
        .value_kind:     hidden_global_offset_z
      - .offset:         200
        .size:           2
        .value_kind:     hidden_grid_dims
    .group_segment_fixed_size: 448
    .kernarg_segment_align: 8
    .kernarg_segment_size: 392
    .language:       OpenCL C
    .language_version:
      - 2
      - 0
    .max_flat_workgroup_size: 64
    .name:           _ZN9rocsparseL29bsrmmnt_small_blockdim_kernelILj64ELj8ELj2EiiaaiiEEv20rocsparse_direction_T3_S2_llNS_24const_host_device_scalarIT7_EEPKT2_PKS2_PKT4_PKT5_llS5_PT6_ll16rocsparse_order_21rocsparse_index_base_b
    .private_segment_fixed_size: 0
    .sgpr_count:     28
    .sgpr_spill_count: 0
    .symbol:         _ZN9rocsparseL29bsrmmnt_small_blockdim_kernelILj64ELj8ELj2EiiaaiiEEv20rocsparse_direction_T3_S2_llNS_24const_host_device_scalarIT7_EEPKT2_PKS2_PKT4_PKT5_llS5_PT6_ll16rocsparse_order_21rocsparse_index_base_b.kd
    .uniform_work_group_size: 1
    .uses_dynamic_stack: false
    .vgpr_count:     35
    .vgpr_spill_count: 0
    .wavefront_size: 32
  - .args:
      - .offset:         0
        .size:           4
        .value_kind:     by_value
      - .offset:         4
        .size:           4
        .value_kind:     by_value
      - .offset:         8
        .size:           4
        .value_kind:     by_value
      - .offset:         16
        .size:           8
        .value_kind:     by_value
      - .offset:         24
        .size:           8
        .value_kind:     by_value
      - .offset:         32
        .size:           8
        .value_kind:     by_value
      - .actual_access:  read_only
        .address_space:  global
        .offset:         40
        .size:           8
        .value_kind:     global_buffer
      - .actual_access:  read_only
        .address_space:  global
        .offset:         48
        .size:           8
        .value_kind:     global_buffer
      - .actual_access:  read_only
        .address_space:  global
        .offset:         56
        .size:           8
        .value_kind:     global_buffer
      - .actual_access:  read_only
        .address_space:  global
        .offset:         64
        .size:           8
        .value_kind:     global_buffer
      - .offset:         72
        .size:           8
        .value_kind:     by_value
      - .offset:         80
        .size:           8
        .value_kind:     by_value
      - .offset:         88
        .size:           8
        .value_kind:     by_value
      - .address_space:  global
        .offset:         96
        .size:           8
        .value_kind:     global_buffer
      - .offset:         104
        .size:           8
        .value_kind:     by_value
      - .offset:         112
        .size:           8
        .value_kind:     by_value
      - .offset:         120
        .size:           4
        .value_kind:     by_value
      - .offset:         124
        .size:           4
        .value_kind:     by_value
      - .offset:         128
        .size:           1
        .value_kind:     by_value
      - .offset:         136
        .size:           4
        .value_kind:     hidden_block_count_x
      - .offset:         140
        .size:           4
        .value_kind:     hidden_block_count_y
      - .offset:         144
        .size:           4
        .value_kind:     hidden_block_count_z
      - .offset:         148
        .size:           2
        .value_kind:     hidden_group_size_x
      - .offset:         150
        .size:           2
        .value_kind:     hidden_group_size_y
      - .offset:         152
        .size:           2
        .value_kind:     hidden_group_size_z
      - .offset:         154
        .size:           2
        .value_kind:     hidden_remainder_x
      - .offset:         156
        .size:           2
        .value_kind:     hidden_remainder_y
      - .offset:         158
        .size:           2
        .value_kind:     hidden_remainder_z
      - .offset:         176
        .size:           8
        .value_kind:     hidden_global_offset_x
      - .offset:         184
        .size:           8
        .value_kind:     hidden_global_offset_y
      - .offset:         192
        .size:           8
        .value_kind:     hidden_global_offset_z
      - .offset:         200
        .size:           2
        .value_kind:     hidden_grid_dims
    .group_segment_fixed_size: 448
    .kernarg_segment_align: 8
    .kernarg_segment_size: 392
    .language:       OpenCL C
    .language_version:
      - 2
      - 0
    .max_flat_workgroup_size: 64
    .name:           _ZN9rocsparseL29bsrmmnt_small_blockdim_kernelILj64ELj16ELj2EiiaaiiEEv20rocsparse_direction_T3_S2_llNS_24const_host_device_scalarIT7_EEPKT2_PKS2_PKT4_PKT5_llS5_PT6_ll16rocsparse_order_21rocsparse_index_base_b
    .private_segment_fixed_size: 0
    .sgpr_count:     28
    .sgpr_spill_count: 0
    .symbol:         _ZN9rocsparseL29bsrmmnt_small_blockdim_kernelILj64ELj16ELj2EiiaaiiEEv20rocsparse_direction_T3_S2_llNS_24const_host_device_scalarIT7_EEPKT2_PKS2_PKT4_PKT5_llS5_PT6_ll16rocsparse_order_21rocsparse_index_base_b.kd
    .uniform_work_group_size: 1
    .uses_dynamic_stack: false
    .vgpr_count:     35
    .vgpr_spill_count: 0
    .wavefront_size: 32
  - .args:
      - .offset:         0
        .size:           4
        .value_kind:     by_value
      - .offset:         4
        .size:           4
        .value_kind:     by_value
      - .offset:         8
        .size:           4
        .value_kind:     by_value
      - .offset:         16
        .size:           8
        .value_kind:     by_value
      - .offset:         24
        .size:           8
        .value_kind:     by_value
      - .offset:         32
        .size:           8
        .value_kind:     by_value
      - .actual_access:  read_only
        .address_space:  global
        .offset:         40
        .size:           8
        .value_kind:     global_buffer
      - .actual_access:  read_only
        .address_space:  global
        .offset:         48
        .size:           8
        .value_kind:     global_buffer
      - .actual_access:  read_only
        .address_space:  global
        .offset:         56
        .size:           8
        .value_kind:     global_buffer
      - .actual_access:  read_only
        .address_space:  global
        .offset:         64
        .size:           8
        .value_kind:     global_buffer
      - .offset:         72
        .size:           8
        .value_kind:     by_value
      - .offset:         80
        .size:           8
        .value_kind:     by_value
      - .offset:         88
        .size:           8
        .value_kind:     by_value
      - .address_space:  global
        .offset:         96
        .size:           8
        .value_kind:     global_buffer
      - .offset:         104
        .size:           8
        .value_kind:     by_value
      - .offset:         112
        .size:           8
        .value_kind:     by_value
      - .offset:         120
        .size:           4
        .value_kind:     by_value
      - .offset:         124
        .size:           4
        .value_kind:     by_value
      - .offset:         128
        .size:           1
        .value_kind:     by_value
      - .offset:         136
        .size:           4
        .value_kind:     hidden_block_count_x
      - .offset:         140
        .size:           4
        .value_kind:     hidden_block_count_y
      - .offset:         144
        .size:           4
        .value_kind:     hidden_block_count_z
      - .offset:         148
        .size:           2
        .value_kind:     hidden_group_size_x
      - .offset:         150
        .size:           2
        .value_kind:     hidden_group_size_y
      - .offset:         152
        .size:           2
        .value_kind:     hidden_group_size_z
      - .offset:         154
        .size:           2
        .value_kind:     hidden_remainder_x
      - .offset:         156
        .size:           2
        .value_kind:     hidden_remainder_y
      - .offset:         158
        .size:           2
        .value_kind:     hidden_remainder_z
      - .offset:         176
        .size:           8
        .value_kind:     hidden_global_offset_x
      - .offset:         184
        .size:           8
        .value_kind:     hidden_global_offset_y
      - .offset:         192
        .size:           8
        .value_kind:     hidden_global_offset_z
      - .offset:         200
        .size:           2
        .value_kind:     hidden_grid_dims
    .group_segment_fixed_size: 448
    .kernarg_segment_align: 8
    .kernarg_segment_size: 392
    .language:       OpenCL C
    .language_version:
      - 2
      - 0
    .max_flat_workgroup_size: 64
    .name:           _ZN9rocsparseL29bsrmmnt_small_blockdim_kernelILj64ELj32ELj2EiiaaiiEEv20rocsparse_direction_T3_S2_llNS_24const_host_device_scalarIT7_EEPKT2_PKS2_PKT4_PKT5_llS5_PT6_ll16rocsparse_order_21rocsparse_index_base_b
    .private_segment_fixed_size: 0
    .sgpr_count:     28
    .sgpr_spill_count: 0
    .symbol:         _ZN9rocsparseL29bsrmmnt_small_blockdim_kernelILj64ELj32ELj2EiiaaiiEEv20rocsparse_direction_T3_S2_llNS_24const_host_device_scalarIT7_EEPKT2_PKS2_PKT4_PKT5_llS5_PT6_ll16rocsparse_order_21rocsparse_index_base_b.kd
    .uniform_work_group_size: 1
    .uses_dynamic_stack: false
    .vgpr_count:     35
    .vgpr_spill_count: 0
    .wavefront_size: 32
  - .args:
      - .offset:         0
        .size:           4
        .value_kind:     by_value
      - .offset:         4
        .size:           4
        .value_kind:     by_value
      - .offset:         8
        .size:           4
        .value_kind:     by_value
      - .offset:         16
        .size:           8
        .value_kind:     by_value
      - .offset:         24
        .size:           8
        .value_kind:     by_value
      - .offset:         32
        .size:           8
        .value_kind:     by_value
      - .actual_access:  read_only
        .address_space:  global
        .offset:         40
        .size:           8
        .value_kind:     global_buffer
      - .actual_access:  read_only
        .address_space:  global
        .offset:         48
        .size:           8
        .value_kind:     global_buffer
      - .actual_access:  read_only
        .address_space:  global
        .offset:         56
        .size:           8
        .value_kind:     global_buffer
      - .actual_access:  read_only
        .address_space:  global
        .offset:         64
        .size:           8
        .value_kind:     global_buffer
      - .offset:         72
        .size:           8
        .value_kind:     by_value
      - .offset:         80
        .size:           8
        .value_kind:     by_value
      - .offset:         88
        .size:           8
        .value_kind:     by_value
      - .address_space:  global
        .offset:         96
        .size:           8
        .value_kind:     global_buffer
      - .offset:         104
        .size:           8
        .value_kind:     by_value
      - .offset:         112
        .size:           8
        .value_kind:     by_value
      - .offset:         120
        .size:           4
        .value_kind:     by_value
      - .offset:         124
        .size:           4
        .value_kind:     by_value
      - .offset:         128
        .size:           1
        .value_kind:     by_value
      - .offset:         136
        .size:           4
        .value_kind:     hidden_block_count_x
      - .offset:         140
        .size:           4
        .value_kind:     hidden_block_count_y
      - .offset:         144
        .size:           4
        .value_kind:     hidden_block_count_z
      - .offset:         148
        .size:           2
        .value_kind:     hidden_group_size_x
      - .offset:         150
        .size:           2
        .value_kind:     hidden_group_size_y
      - .offset:         152
        .size:           2
        .value_kind:     hidden_group_size_z
      - .offset:         154
        .size:           2
        .value_kind:     hidden_remainder_x
      - .offset:         156
        .size:           2
        .value_kind:     hidden_remainder_y
      - .offset:         158
        .size:           2
        .value_kind:     hidden_remainder_z
      - .offset:         176
        .size:           8
        .value_kind:     hidden_global_offset_x
      - .offset:         184
        .size:           8
        .value_kind:     hidden_global_offset_y
      - .offset:         192
        .size:           8
        .value_kind:     hidden_global_offset_z
      - .offset:         200
        .size:           2
        .value_kind:     hidden_grid_dims
    .group_segment_fixed_size: 448
    .kernarg_segment_align: 8
    .kernarg_segment_size: 392
    .language:       OpenCL C
    .language_version:
      - 2
      - 0
    .max_flat_workgroup_size: 64
    .name:           _ZN9rocsparseL29bsrmmnt_small_blockdim_kernelILj64ELj64ELj2EiiaaiiEEv20rocsparse_direction_T3_S2_llNS_24const_host_device_scalarIT7_EEPKT2_PKS2_PKT4_PKT5_llS5_PT6_ll16rocsparse_order_21rocsparse_index_base_b
    .private_segment_fixed_size: 0
    .sgpr_count:     37
    .sgpr_spill_count: 0
    .symbol:         _ZN9rocsparseL29bsrmmnt_small_blockdim_kernelILj64ELj64ELj2EiiaaiiEEv20rocsparse_direction_T3_S2_llNS_24const_host_device_scalarIT7_EEPKT2_PKS2_PKT4_PKT5_llS5_PT6_ll16rocsparse_order_21rocsparse_index_base_b.kd
    .uniform_work_group_size: 1
    .uses_dynamic_stack: false
    .vgpr_count:     33
    .vgpr_spill_count: 0
    .wavefront_size: 32
  - .args:
      - .offset:         0
        .size:           4
        .value_kind:     by_value
      - .offset:         4
        .size:           4
        .value_kind:     by_value
      - .offset:         8
        .size:           4
        .value_kind:     by_value
      - .offset:         16
        .size:           8
        .value_kind:     by_value
      - .offset:         24
        .size:           8
        .value_kind:     by_value
      - .offset:         32
        .size:           8
        .value_kind:     by_value
      - .actual_access:  read_only
        .address_space:  global
        .offset:         40
        .size:           8
        .value_kind:     global_buffer
      - .actual_access:  read_only
        .address_space:  global
        .offset:         48
        .size:           8
        .value_kind:     global_buffer
      - .actual_access:  read_only
        .address_space:  global
        .offset:         56
        .size:           8
        .value_kind:     global_buffer
      - .actual_access:  read_only
        .address_space:  global
        .offset:         64
        .size:           8
        .value_kind:     global_buffer
      - .offset:         72
        .size:           8
        .value_kind:     by_value
      - .offset:         80
        .size:           8
        .value_kind:     by_value
      - .offset:         88
        .size:           8
        .value_kind:     by_value
      - .address_space:  global
        .offset:         96
        .size:           8
        .value_kind:     global_buffer
      - .offset:         104
        .size:           8
        .value_kind:     by_value
      - .offset:         112
        .size:           8
        .value_kind:     by_value
      - .offset:         120
        .size:           4
        .value_kind:     by_value
      - .offset:         124
        .size:           4
        .value_kind:     by_value
      - .offset:         128
        .size:           1
        .value_kind:     by_value
      - .offset:         136
        .size:           4
        .value_kind:     hidden_block_count_x
      - .offset:         140
        .size:           4
        .value_kind:     hidden_block_count_y
      - .offset:         144
        .size:           4
        .value_kind:     hidden_block_count_z
      - .offset:         148
        .size:           2
        .value_kind:     hidden_group_size_x
      - .offset:         150
        .size:           2
        .value_kind:     hidden_group_size_y
      - .offset:         152
        .size:           2
        .value_kind:     hidden_group_size_z
      - .offset:         154
        .size:           2
        .value_kind:     hidden_remainder_x
      - .offset:         156
        .size:           2
        .value_kind:     hidden_remainder_y
      - .offset:         158
        .size:           2
        .value_kind:     hidden_remainder_z
      - .offset:         176
        .size:           8
        .value_kind:     hidden_global_offset_x
      - .offset:         184
        .size:           8
        .value_kind:     hidden_global_offset_y
      - .offset:         192
        .size:           8
        .value_kind:     hidden_global_offset_z
      - .offset:         200
        .size:           2
        .value_kind:     hidden_grid_dims
    .group_segment_fixed_size: 448
    .kernarg_segment_align: 8
    .kernarg_segment_size: 392
    .language:       OpenCL C
    .language_version:
      - 2
      - 0
    .max_flat_workgroup_size: 64
    .name:           _ZN9rocsparseL29bsrmmnt_small_blockdim_kernelILj64ELj8ELj2EliaaiiEEv20rocsparse_direction_T3_S2_llNS_24const_host_device_scalarIT7_EEPKT2_PKS2_PKT4_PKT5_llS5_PT6_ll16rocsparse_order_21rocsparse_index_base_b
    .private_segment_fixed_size: 0
    .sgpr_count:     28
    .sgpr_spill_count: 0
    .symbol:         _ZN9rocsparseL29bsrmmnt_small_blockdim_kernelILj64ELj8ELj2EliaaiiEEv20rocsparse_direction_T3_S2_llNS_24const_host_device_scalarIT7_EEPKT2_PKS2_PKT4_PKT5_llS5_PT6_ll16rocsparse_order_21rocsparse_index_base_b.kd
    .uniform_work_group_size: 1
    .uses_dynamic_stack: false
    .vgpr_count:     39
    .vgpr_spill_count: 0
    .wavefront_size: 32
  - .args:
      - .offset:         0
        .size:           4
        .value_kind:     by_value
      - .offset:         4
        .size:           4
        .value_kind:     by_value
      - .offset:         8
        .size:           4
        .value_kind:     by_value
      - .offset:         16
        .size:           8
        .value_kind:     by_value
      - .offset:         24
        .size:           8
        .value_kind:     by_value
      - .offset:         32
        .size:           8
        .value_kind:     by_value
      - .actual_access:  read_only
        .address_space:  global
        .offset:         40
        .size:           8
        .value_kind:     global_buffer
      - .actual_access:  read_only
        .address_space:  global
        .offset:         48
        .size:           8
        .value_kind:     global_buffer
      - .actual_access:  read_only
        .address_space:  global
        .offset:         56
        .size:           8
        .value_kind:     global_buffer
      - .actual_access:  read_only
        .address_space:  global
        .offset:         64
        .size:           8
        .value_kind:     global_buffer
      - .offset:         72
        .size:           8
        .value_kind:     by_value
      - .offset:         80
        .size:           8
        .value_kind:     by_value
      - .offset:         88
        .size:           8
        .value_kind:     by_value
      - .address_space:  global
        .offset:         96
        .size:           8
        .value_kind:     global_buffer
      - .offset:         104
        .size:           8
        .value_kind:     by_value
      - .offset:         112
        .size:           8
        .value_kind:     by_value
      - .offset:         120
        .size:           4
        .value_kind:     by_value
      - .offset:         124
        .size:           4
        .value_kind:     by_value
      - .offset:         128
        .size:           1
        .value_kind:     by_value
      - .offset:         136
        .size:           4
        .value_kind:     hidden_block_count_x
      - .offset:         140
        .size:           4
        .value_kind:     hidden_block_count_y
      - .offset:         144
        .size:           4
        .value_kind:     hidden_block_count_z
      - .offset:         148
        .size:           2
        .value_kind:     hidden_group_size_x
      - .offset:         150
        .size:           2
        .value_kind:     hidden_group_size_y
      - .offset:         152
        .size:           2
        .value_kind:     hidden_group_size_z
      - .offset:         154
        .size:           2
        .value_kind:     hidden_remainder_x
      - .offset:         156
        .size:           2
        .value_kind:     hidden_remainder_y
      - .offset:         158
        .size:           2
        .value_kind:     hidden_remainder_z
      - .offset:         176
        .size:           8
        .value_kind:     hidden_global_offset_x
      - .offset:         184
        .size:           8
        .value_kind:     hidden_global_offset_y
      - .offset:         192
        .size:           8
        .value_kind:     hidden_global_offset_z
      - .offset:         200
        .size:           2
        .value_kind:     hidden_grid_dims
    .group_segment_fixed_size: 448
    .kernarg_segment_align: 8
    .kernarg_segment_size: 392
    .language:       OpenCL C
    .language_version:
      - 2
      - 0
    .max_flat_workgroup_size: 64
    .name:           _ZN9rocsparseL29bsrmmnt_small_blockdim_kernelILj64ELj16ELj2EliaaiiEEv20rocsparse_direction_T3_S2_llNS_24const_host_device_scalarIT7_EEPKT2_PKS2_PKT4_PKT5_llS5_PT6_ll16rocsparse_order_21rocsparse_index_base_b
    .private_segment_fixed_size: 0
    .sgpr_count:     28
    .sgpr_spill_count: 0
    .symbol:         _ZN9rocsparseL29bsrmmnt_small_blockdim_kernelILj64ELj16ELj2EliaaiiEEv20rocsparse_direction_T3_S2_llNS_24const_host_device_scalarIT7_EEPKT2_PKS2_PKT4_PKT5_llS5_PT6_ll16rocsparse_order_21rocsparse_index_base_b.kd
    .uniform_work_group_size: 1
    .uses_dynamic_stack: false
    .vgpr_count:     39
    .vgpr_spill_count: 0
    .wavefront_size: 32
  - .args:
      - .offset:         0
        .size:           4
        .value_kind:     by_value
      - .offset:         4
        .size:           4
        .value_kind:     by_value
      - .offset:         8
        .size:           4
        .value_kind:     by_value
      - .offset:         16
        .size:           8
        .value_kind:     by_value
      - .offset:         24
        .size:           8
        .value_kind:     by_value
      - .offset:         32
        .size:           8
        .value_kind:     by_value
      - .actual_access:  read_only
        .address_space:  global
        .offset:         40
        .size:           8
        .value_kind:     global_buffer
      - .actual_access:  read_only
        .address_space:  global
        .offset:         48
        .size:           8
        .value_kind:     global_buffer
      - .actual_access:  read_only
        .address_space:  global
        .offset:         56
        .size:           8
        .value_kind:     global_buffer
      - .actual_access:  read_only
        .address_space:  global
        .offset:         64
        .size:           8
        .value_kind:     global_buffer
      - .offset:         72
        .size:           8
        .value_kind:     by_value
      - .offset:         80
        .size:           8
        .value_kind:     by_value
      - .offset:         88
        .size:           8
        .value_kind:     by_value
      - .address_space:  global
        .offset:         96
        .size:           8
        .value_kind:     global_buffer
      - .offset:         104
        .size:           8
        .value_kind:     by_value
      - .offset:         112
        .size:           8
        .value_kind:     by_value
      - .offset:         120
        .size:           4
        .value_kind:     by_value
      - .offset:         124
        .size:           4
        .value_kind:     by_value
      - .offset:         128
        .size:           1
        .value_kind:     by_value
      - .offset:         136
        .size:           4
        .value_kind:     hidden_block_count_x
      - .offset:         140
        .size:           4
        .value_kind:     hidden_block_count_y
      - .offset:         144
        .size:           4
        .value_kind:     hidden_block_count_z
      - .offset:         148
        .size:           2
        .value_kind:     hidden_group_size_x
      - .offset:         150
        .size:           2
        .value_kind:     hidden_group_size_y
      - .offset:         152
        .size:           2
        .value_kind:     hidden_group_size_z
      - .offset:         154
        .size:           2
        .value_kind:     hidden_remainder_x
      - .offset:         156
        .size:           2
        .value_kind:     hidden_remainder_y
      - .offset:         158
        .size:           2
        .value_kind:     hidden_remainder_z
      - .offset:         176
        .size:           8
        .value_kind:     hidden_global_offset_x
      - .offset:         184
        .size:           8
        .value_kind:     hidden_global_offset_y
      - .offset:         192
        .size:           8
        .value_kind:     hidden_global_offset_z
      - .offset:         200
        .size:           2
        .value_kind:     hidden_grid_dims
    .group_segment_fixed_size: 448
    .kernarg_segment_align: 8
    .kernarg_segment_size: 392
    .language:       OpenCL C
    .language_version:
      - 2
      - 0
    .max_flat_workgroup_size: 64
    .name:           _ZN9rocsparseL29bsrmmnt_small_blockdim_kernelILj64ELj32ELj2EliaaiiEEv20rocsparse_direction_T3_S2_llNS_24const_host_device_scalarIT7_EEPKT2_PKS2_PKT4_PKT5_llS5_PT6_ll16rocsparse_order_21rocsparse_index_base_b
    .private_segment_fixed_size: 0
    .sgpr_count:     28
    .sgpr_spill_count: 0
    .symbol:         _ZN9rocsparseL29bsrmmnt_small_blockdim_kernelILj64ELj32ELj2EliaaiiEEv20rocsparse_direction_T3_S2_llNS_24const_host_device_scalarIT7_EEPKT2_PKS2_PKT4_PKT5_llS5_PT6_ll16rocsparse_order_21rocsparse_index_base_b.kd
    .uniform_work_group_size: 1
    .uses_dynamic_stack: false
    .vgpr_count:     39
    .vgpr_spill_count: 0
    .wavefront_size: 32
  - .args:
      - .offset:         0
        .size:           4
        .value_kind:     by_value
      - .offset:         4
        .size:           4
        .value_kind:     by_value
      - .offset:         8
        .size:           4
        .value_kind:     by_value
      - .offset:         16
        .size:           8
        .value_kind:     by_value
      - .offset:         24
        .size:           8
        .value_kind:     by_value
      - .offset:         32
        .size:           8
        .value_kind:     by_value
      - .actual_access:  read_only
        .address_space:  global
        .offset:         40
        .size:           8
        .value_kind:     global_buffer
      - .actual_access:  read_only
        .address_space:  global
        .offset:         48
        .size:           8
        .value_kind:     global_buffer
      - .actual_access:  read_only
        .address_space:  global
        .offset:         56
        .size:           8
        .value_kind:     global_buffer
      - .actual_access:  read_only
        .address_space:  global
        .offset:         64
        .size:           8
        .value_kind:     global_buffer
      - .offset:         72
        .size:           8
        .value_kind:     by_value
      - .offset:         80
        .size:           8
        .value_kind:     by_value
      - .offset:         88
        .size:           8
        .value_kind:     by_value
      - .address_space:  global
        .offset:         96
        .size:           8
        .value_kind:     global_buffer
      - .offset:         104
        .size:           8
        .value_kind:     by_value
      - .offset:         112
        .size:           8
        .value_kind:     by_value
      - .offset:         120
        .size:           4
        .value_kind:     by_value
      - .offset:         124
        .size:           4
        .value_kind:     by_value
      - .offset:         128
        .size:           1
        .value_kind:     by_value
      - .offset:         136
        .size:           4
        .value_kind:     hidden_block_count_x
      - .offset:         140
        .size:           4
        .value_kind:     hidden_block_count_y
      - .offset:         144
        .size:           4
        .value_kind:     hidden_block_count_z
      - .offset:         148
        .size:           2
        .value_kind:     hidden_group_size_x
      - .offset:         150
        .size:           2
        .value_kind:     hidden_group_size_y
      - .offset:         152
        .size:           2
        .value_kind:     hidden_group_size_z
      - .offset:         154
        .size:           2
        .value_kind:     hidden_remainder_x
      - .offset:         156
        .size:           2
        .value_kind:     hidden_remainder_y
      - .offset:         158
        .size:           2
        .value_kind:     hidden_remainder_z
      - .offset:         176
        .size:           8
        .value_kind:     hidden_global_offset_x
      - .offset:         184
        .size:           8
        .value_kind:     hidden_global_offset_y
      - .offset:         192
        .size:           8
        .value_kind:     hidden_global_offset_z
      - .offset:         200
        .size:           2
        .value_kind:     hidden_grid_dims
    .group_segment_fixed_size: 448
    .kernarg_segment_align: 8
    .kernarg_segment_size: 392
    .language:       OpenCL C
    .language_version:
      - 2
      - 0
    .max_flat_workgroup_size: 64
    .name:           _ZN9rocsparseL29bsrmmnt_small_blockdim_kernelILj64ELj64ELj2EliaaiiEEv20rocsparse_direction_T3_S2_llNS_24const_host_device_scalarIT7_EEPKT2_PKS2_PKT4_PKT5_llS5_PT6_ll16rocsparse_order_21rocsparse_index_base_b
    .private_segment_fixed_size: 0
    .sgpr_count:     37
    .sgpr_spill_count: 0
    .symbol:         _ZN9rocsparseL29bsrmmnt_small_blockdim_kernelILj64ELj64ELj2EliaaiiEEv20rocsparse_direction_T3_S2_llNS_24const_host_device_scalarIT7_EEPKT2_PKS2_PKT4_PKT5_llS5_PT6_ll16rocsparse_order_21rocsparse_index_base_b.kd
    .uniform_work_group_size: 1
    .uses_dynamic_stack: false
    .vgpr_count:     37
    .vgpr_spill_count: 0
    .wavefront_size: 32
  - .args:
      - .offset:         0
        .size:           4
        .value_kind:     by_value
      - .offset:         8
        .size:           8
        .value_kind:     by_value
      - .offset:         16
        .size:           8
        .value_kind:     by_value
      - .offset:         24
        .size:           8
        .value_kind:     by_value
      - .offset:         32
        .size:           8
        .value_kind:     by_value
      - .offset:         40
        .size:           8
        .value_kind:     by_value
      - .actual_access:  read_only
        .address_space:  global
        .offset:         48
        .size:           8
        .value_kind:     global_buffer
      - .actual_access:  read_only
        .address_space:  global
        .offset:         56
        .size:           8
        .value_kind:     global_buffer
      - .actual_access:  read_only
        .address_space:  global
        .offset:         64
        .size:           8
        .value_kind:     global_buffer
      - .actual_access:  read_only
        .address_space:  global
        .offset:         72
        .size:           8
        .value_kind:     global_buffer
      - .offset:         80
        .size:           8
        .value_kind:     by_value
      - .offset:         88
        .size:           8
        .value_kind:     by_value
      - .offset:         96
        .size:           8
        .value_kind:     by_value
      - .address_space:  global
        .offset:         104
        .size:           8
        .value_kind:     global_buffer
      - .offset:         112
        .size:           8
        .value_kind:     by_value
      - .offset:         120
        .size:           8
        .value_kind:     by_value
      - .offset:         128
        .size:           4
        .value_kind:     by_value
      - .offset:         132
        .size:           4
        .value_kind:     by_value
      - .offset:         136
        .size:           1
        .value_kind:     by_value
      - .offset:         144
        .size:           4
        .value_kind:     hidden_block_count_x
      - .offset:         148
        .size:           4
        .value_kind:     hidden_block_count_y
      - .offset:         152
        .size:           4
        .value_kind:     hidden_block_count_z
      - .offset:         156
        .size:           2
        .value_kind:     hidden_group_size_x
      - .offset:         158
        .size:           2
        .value_kind:     hidden_group_size_y
      - .offset:         160
        .size:           2
        .value_kind:     hidden_group_size_z
      - .offset:         162
        .size:           2
        .value_kind:     hidden_remainder_x
      - .offset:         164
        .size:           2
        .value_kind:     hidden_remainder_y
      - .offset:         166
        .size:           2
        .value_kind:     hidden_remainder_z
      - .offset:         184
        .size:           8
        .value_kind:     hidden_global_offset_x
      - .offset:         192
        .size:           8
        .value_kind:     hidden_global_offset_y
      - .offset:         200
        .size:           8
        .value_kind:     hidden_global_offset_z
      - .offset:         208
        .size:           2
        .value_kind:     hidden_grid_dims
    .group_segment_fixed_size: 704
    .kernarg_segment_align: 8
    .kernarg_segment_size: 400
    .language:       OpenCL C
    .language_version:
      - 2
      - 0
    .max_flat_workgroup_size: 64
    .name:           _ZN9rocsparseL29bsrmmnt_small_blockdim_kernelILj64ELj8ELj2EllaaiiEEv20rocsparse_direction_T3_S2_llNS_24const_host_device_scalarIT7_EEPKT2_PKS2_PKT4_PKT5_llS5_PT6_ll16rocsparse_order_21rocsparse_index_base_b
    .private_segment_fixed_size: 0
    .sgpr_count:     27
    .sgpr_spill_count: 0
    .symbol:         _ZN9rocsparseL29bsrmmnt_small_blockdim_kernelILj64ELj8ELj2EllaaiiEEv20rocsparse_direction_T3_S2_llNS_24const_host_device_scalarIT7_EEPKT2_PKS2_PKT4_PKT5_llS5_PT6_ll16rocsparse_order_21rocsparse_index_base_b.kd
    .uniform_work_group_size: 1
    .uses_dynamic_stack: false
    .vgpr_count:     36
    .vgpr_spill_count: 0
    .wavefront_size: 32
  - .args:
      - .offset:         0
        .size:           4
        .value_kind:     by_value
      - .offset:         8
        .size:           8
        .value_kind:     by_value
      - .offset:         16
        .size:           8
        .value_kind:     by_value
      - .offset:         24
        .size:           8
        .value_kind:     by_value
      - .offset:         32
        .size:           8
        .value_kind:     by_value
      - .offset:         40
        .size:           8
        .value_kind:     by_value
      - .actual_access:  read_only
        .address_space:  global
        .offset:         48
        .size:           8
        .value_kind:     global_buffer
      - .actual_access:  read_only
        .address_space:  global
        .offset:         56
        .size:           8
        .value_kind:     global_buffer
      - .actual_access:  read_only
        .address_space:  global
        .offset:         64
        .size:           8
        .value_kind:     global_buffer
      - .actual_access:  read_only
        .address_space:  global
        .offset:         72
        .size:           8
        .value_kind:     global_buffer
      - .offset:         80
        .size:           8
        .value_kind:     by_value
      - .offset:         88
        .size:           8
        .value_kind:     by_value
      - .offset:         96
        .size:           8
        .value_kind:     by_value
      - .address_space:  global
        .offset:         104
        .size:           8
        .value_kind:     global_buffer
      - .offset:         112
        .size:           8
        .value_kind:     by_value
      - .offset:         120
        .size:           8
        .value_kind:     by_value
      - .offset:         128
        .size:           4
        .value_kind:     by_value
      - .offset:         132
        .size:           4
        .value_kind:     by_value
      - .offset:         136
        .size:           1
        .value_kind:     by_value
      - .offset:         144
        .size:           4
        .value_kind:     hidden_block_count_x
      - .offset:         148
        .size:           4
        .value_kind:     hidden_block_count_y
      - .offset:         152
        .size:           4
        .value_kind:     hidden_block_count_z
      - .offset:         156
        .size:           2
        .value_kind:     hidden_group_size_x
      - .offset:         158
        .size:           2
        .value_kind:     hidden_group_size_y
      - .offset:         160
        .size:           2
        .value_kind:     hidden_group_size_z
      - .offset:         162
        .size:           2
        .value_kind:     hidden_remainder_x
      - .offset:         164
        .size:           2
        .value_kind:     hidden_remainder_y
      - .offset:         166
        .size:           2
        .value_kind:     hidden_remainder_z
      - .offset:         184
        .size:           8
        .value_kind:     hidden_global_offset_x
      - .offset:         192
        .size:           8
        .value_kind:     hidden_global_offset_y
      - .offset:         200
        .size:           8
        .value_kind:     hidden_global_offset_z
      - .offset:         208
        .size:           2
        .value_kind:     hidden_grid_dims
    .group_segment_fixed_size: 704
    .kernarg_segment_align: 8
    .kernarg_segment_size: 400
    .language:       OpenCL C
    .language_version:
      - 2
      - 0
    .max_flat_workgroup_size: 64
    .name:           _ZN9rocsparseL29bsrmmnt_small_blockdim_kernelILj64ELj16ELj2EllaaiiEEv20rocsparse_direction_T3_S2_llNS_24const_host_device_scalarIT7_EEPKT2_PKS2_PKT4_PKT5_llS5_PT6_ll16rocsparse_order_21rocsparse_index_base_b
    .private_segment_fixed_size: 0
    .sgpr_count:     27
    .sgpr_spill_count: 0
    .symbol:         _ZN9rocsparseL29bsrmmnt_small_blockdim_kernelILj64ELj16ELj2EllaaiiEEv20rocsparse_direction_T3_S2_llNS_24const_host_device_scalarIT7_EEPKT2_PKS2_PKT4_PKT5_llS5_PT6_ll16rocsparse_order_21rocsparse_index_base_b.kd
    .uniform_work_group_size: 1
    .uses_dynamic_stack: false
    .vgpr_count:     36
    .vgpr_spill_count: 0
    .wavefront_size: 32
  - .args:
      - .offset:         0
        .size:           4
        .value_kind:     by_value
      - .offset:         8
        .size:           8
        .value_kind:     by_value
      - .offset:         16
        .size:           8
        .value_kind:     by_value
      - .offset:         24
        .size:           8
        .value_kind:     by_value
      - .offset:         32
        .size:           8
        .value_kind:     by_value
      - .offset:         40
        .size:           8
        .value_kind:     by_value
      - .actual_access:  read_only
        .address_space:  global
        .offset:         48
        .size:           8
        .value_kind:     global_buffer
      - .actual_access:  read_only
        .address_space:  global
        .offset:         56
        .size:           8
        .value_kind:     global_buffer
      - .actual_access:  read_only
        .address_space:  global
        .offset:         64
        .size:           8
        .value_kind:     global_buffer
      - .actual_access:  read_only
        .address_space:  global
        .offset:         72
        .size:           8
        .value_kind:     global_buffer
      - .offset:         80
        .size:           8
        .value_kind:     by_value
      - .offset:         88
        .size:           8
        .value_kind:     by_value
      - .offset:         96
        .size:           8
        .value_kind:     by_value
      - .address_space:  global
        .offset:         104
        .size:           8
        .value_kind:     global_buffer
      - .offset:         112
        .size:           8
        .value_kind:     by_value
      - .offset:         120
        .size:           8
        .value_kind:     by_value
      - .offset:         128
        .size:           4
        .value_kind:     by_value
      - .offset:         132
        .size:           4
        .value_kind:     by_value
      - .offset:         136
        .size:           1
        .value_kind:     by_value
      - .offset:         144
        .size:           4
        .value_kind:     hidden_block_count_x
      - .offset:         148
        .size:           4
        .value_kind:     hidden_block_count_y
      - .offset:         152
        .size:           4
        .value_kind:     hidden_block_count_z
      - .offset:         156
        .size:           2
        .value_kind:     hidden_group_size_x
      - .offset:         158
        .size:           2
        .value_kind:     hidden_group_size_y
      - .offset:         160
        .size:           2
        .value_kind:     hidden_group_size_z
      - .offset:         162
        .size:           2
        .value_kind:     hidden_remainder_x
      - .offset:         164
        .size:           2
        .value_kind:     hidden_remainder_y
      - .offset:         166
        .size:           2
        .value_kind:     hidden_remainder_z
      - .offset:         184
        .size:           8
        .value_kind:     hidden_global_offset_x
      - .offset:         192
        .size:           8
        .value_kind:     hidden_global_offset_y
      - .offset:         200
        .size:           8
        .value_kind:     hidden_global_offset_z
      - .offset:         208
        .size:           2
        .value_kind:     hidden_grid_dims
    .group_segment_fixed_size: 704
    .kernarg_segment_align: 8
    .kernarg_segment_size: 400
    .language:       OpenCL C
    .language_version:
      - 2
      - 0
    .max_flat_workgroup_size: 64
    .name:           _ZN9rocsparseL29bsrmmnt_small_blockdim_kernelILj64ELj32ELj2EllaaiiEEv20rocsparse_direction_T3_S2_llNS_24const_host_device_scalarIT7_EEPKT2_PKS2_PKT4_PKT5_llS5_PT6_ll16rocsparse_order_21rocsparse_index_base_b
    .private_segment_fixed_size: 0
    .sgpr_count:     27
    .sgpr_spill_count: 0
    .symbol:         _ZN9rocsparseL29bsrmmnt_small_blockdim_kernelILj64ELj32ELj2EllaaiiEEv20rocsparse_direction_T3_S2_llNS_24const_host_device_scalarIT7_EEPKT2_PKS2_PKT4_PKT5_llS5_PT6_ll16rocsparse_order_21rocsparse_index_base_b.kd
    .uniform_work_group_size: 1
    .uses_dynamic_stack: false
    .vgpr_count:     36
    .vgpr_spill_count: 0
    .wavefront_size: 32
  - .args:
      - .offset:         0
        .size:           4
        .value_kind:     by_value
      - .offset:         8
        .size:           8
        .value_kind:     by_value
      - .offset:         16
        .size:           8
        .value_kind:     by_value
      - .offset:         24
        .size:           8
        .value_kind:     by_value
      - .offset:         32
        .size:           8
        .value_kind:     by_value
      - .offset:         40
        .size:           8
        .value_kind:     by_value
      - .actual_access:  read_only
        .address_space:  global
        .offset:         48
        .size:           8
        .value_kind:     global_buffer
      - .actual_access:  read_only
        .address_space:  global
        .offset:         56
        .size:           8
        .value_kind:     global_buffer
      - .actual_access:  read_only
        .address_space:  global
        .offset:         64
        .size:           8
        .value_kind:     global_buffer
      - .actual_access:  read_only
        .address_space:  global
        .offset:         72
        .size:           8
        .value_kind:     global_buffer
      - .offset:         80
        .size:           8
        .value_kind:     by_value
      - .offset:         88
        .size:           8
        .value_kind:     by_value
      - .offset:         96
        .size:           8
        .value_kind:     by_value
      - .address_space:  global
        .offset:         104
        .size:           8
        .value_kind:     global_buffer
      - .offset:         112
        .size:           8
        .value_kind:     by_value
      - .offset:         120
        .size:           8
        .value_kind:     by_value
      - .offset:         128
        .size:           4
        .value_kind:     by_value
      - .offset:         132
        .size:           4
        .value_kind:     by_value
      - .offset:         136
        .size:           1
        .value_kind:     by_value
      - .offset:         144
        .size:           4
        .value_kind:     hidden_block_count_x
      - .offset:         148
        .size:           4
        .value_kind:     hidden_block_count_y
      - .offset:         152
        .size:           4
        .value_kind:     hidden_block_count_z
      - .offset:         156
        .size:           2
        .value_kind:     hidden_group_size_x
      - .offset:         158
        .size:           2
        .value_kind:     hidden_group_size_y
      - .offset:         160
        .size:           2
        .value_kind:     hidden_group_size_z
      - .offset:         162
        .size:           2
        .value_kind:     hidden_remainder_x
      - .offset:         164
        .size:           2
        .value_kind:     hidden_remainder_y
      - .offset:         166
        .size:           2
        .value_kind:     hidden_remainder_z
      - .offset:         184
        .size:           8
        .value_kind:     hidden_global_offset_x
      - .offset:         192
        .size:           8
        .value_kind:     hidden_global_offset_y
      - .offset:         200
        .size:           8
        .value_kind:     hidden_global_offset_z
      - .offset:         208
        .size:           2
        .value_kind:     hidden_grid_dims
    .group_segment_fixed_size: 704
    .kernarg_segment_align: 8
    .kernarg_segment_size: 400
    .language:       OpenCL C
    .language_version:
      - 2
      - 0
    .max_flat_workgroup_size: 64
    .name:           _ZN9rocsparseL29bsrmmnt_small_blockdim_kernelILj64ELj64ELj2EllaaiiEEv20rocsparse_direction_T3_S2_llNS_24const_host_device_scalarIT7_EEPKT2_PKS2_PKT4_PKT5_llS5_PT6_ll16rocsparse_order_21rocsparse_index_base_b
    .private_segment_fixed_size: 0
    .sgpr_count:     27
    .sgpr_spill_count: 0
    .symbol:         _ZN9rocsparseL29bsrmmnt_small_blockdim_kernelILj64ELj64ELj2EllaaiiEEv20rocsparse_direction_T3_S2_llNS_24const_host_device_scalarIT7_EEPKT2_PKS2_PKT4_PKT5_llS5_PT6_ll16rocsparse_order_21rocsparse_index_base_b.kd
    .uniform_work_group_size: 1
    .uses_dynamic_stack: false
    .vgpr_count:     34
    .vgpr_spill_count: 0
    .wavefront_size: 32
  - .args:
      - .offset:         0
        .size:           4
        .value_kind:     by_value
      - .offset:         4
        .size:           4
        .value_kind:     by_value
      - .offset:         8
        .size:           4
        .value_kind:     by_value
      - .offset:         16
        .size:           8
        .value_kind:     by_value
      - .offset:         24
        .size:           8
        .value_kind:     by_value
      - .offset:         32
        .size:           8
        .value_kind:     by_value
      - .actual_access:  read_only
        .address_space:  global
        .offset:         40
        .size:           8
        .value_kind:     global_buffer
      - .actual_access:  read_only
        .address_space:  global
        .offset:         48
        .size:           8
        .value_kind:     global_buffer
      - .actual_access:  read_only
        .address_space:  global
        .offset:         56
        .size:           8
        .value_kind:     global_buffer
      - .actual_access:  read_only
        .address_space:  global
        .offset:         64
        .size:           8
        .value_kind:     global_buffer
      - .offset:         72
        .size:           8
        .value_kind:     by_value
      - .offset:         80
        .size:           8
        .value_kind:     by_value
      - .offset:         88
        .size:           8
        .value_kind:     by_value
      - .address_space:  global
        .offset:         96
        .size:           8
        .value_kind:     global_buffer
      - .offset:         104
        .size:           8
        .value_kind:     by_value
      - .offset:         112
        .size:           8
        .value_kind:     by_value
      - .offset:         120
        .size:           4
        .value_kind:     by_value
      - .offset:         124
        .size:           4
        .value_kind:     by_value
      - .offset:         128
        .size:           1
        .value_kind:     by_value
      - .offset:         136
        .size:           4
        .value_kind:     hidden_block_count_x
      - .offset:         140
        .size:           4
        .value_kind:     hidden_block_count_y
      - .offset:         144
        .size:           4
        .value_kind:     hidden_block_count_z
      - .offset:         148
        .size:           2
        .value_kind:     hidden_group_size_x
      - .offset:         150
        .size:           2
        .value_kind:     hidden_group_size_y
      - .offset:         152
        .size:           2
        .value_kind:     hidden_group_size_z
      - .offset:         154
        .size:           2
        .value_kind:     hidden_remainder_x
      - .offset:         156
        .size:           2
        .value_kind:     hidden_remainder_y
      - .offset:         158
        .size:           2
        .value_kind:     hidden_remainder_z
      - .offset:         176
        .size:           8
        .value_kind:     hidden_global_offset_x
      - .offset:         184
        .size:           8
        .value_kind:     hidden_global_offset_y
      - .offset:         192
        .size:           8
        .value_kind:     hidden_global_offset_z
      - .offset:         200
        .size:           2
        .value_kind:     hidden_grid_dims
    .group_segment_fixed_size: 448
    .kernarg_segment_align: 8
    .kernarg_segment_size: 392
    .language:       OpenCL C
    .language_version:
      - 2
      - 0
    .max_flat_workgroup_size: 64
    .name:           _ZN9rocsparseL29bsrmmnt_small_blockdim_kernelILj64ELj8ELj2EiiaaffEEv20rocsparse_direction_T3_S2_llNS_24const_host_device_scalarIT7_EEPKT2_PKS2_PKT4_PKT5_llS5_PT6_ll16rocsparse_order_21rocsparse_index_base_b
    .private_segment_fixed_size: 0
    .sgpr_count:     28
    .sgpr_spill_count: 0
    .symbol:         _ZN9rocsparseL29bsrmmnt_small_blockdim_kernelILj64ELj8ELj2EiiaaffEEv20rocsparse_direction_T3_S2_llNS_24const_host_device_scalarIT7_EEPKT2_PKS2_PKT4_PKT5_llS5_PT6_ll16rocsparse_order_21rocsparse_index_base_b.kd
    .uniform_work_group_size: 1
    .uses_dynamic_stack: false
    .vgpr_count:     32
    .vgpr_spill_count: 0
    .wavefront_size: 32
  - .args:
      - .offset:         0
        .size:           4
        .value_kind:     by_value
      - .offset:         4
        .size:           4
        .value_kind:     by_value
      - .offset:         8
        .size:           4
        .value_kind:     by_value
      - .offset:         16
        .size:           8
        .value_kind:     by_value
      - .offset:         24
        .size:           8
        .value_kind:     by_value
      - .offset:         32
        .size:           8
        .value_kind:     by_value
      - .actual_access:  read_only
        .address_space:  global
        .offset:         40
        .size:           8
        .value_kind:     global_buffer
      - .actual_access:  read_only
        .address_space:  global
        .offset:         48
        .size:           8
        .value_kind:     global_buffer
      - .actual_access:  read_only
        .address_space:  global
        .offset:         56
        .size:           8
        .value_kind:     global_buffer
      - .actual_access:  read_only
        .address_space:  global
        .offset:         64
        .size:           8
        .value_kind:     global_buffer
      - .offset:         72
        .size:           8
        .value_kind:     by_value
      - .offset:         80
        .size:           8
        .value_kind:     by_value
      - .offset:         88
        .size:           8
        .value_kind:     by_value
      - .address_space:  global
        .offset:         96
        .size:           8
        .value_kind:     global_buffer
      - .offset:         104
        .size:           8
        .value_kind:     by_value
      - .offset:         112
        .size:           8
        .value_kind:     by_value
      - .offset:         120
        .size:           4
        .value_kind:     by_value
      - .offset:         124
        .size:           4
        .value_kind:     by_value
      - .offset:         128
        .size:           1
        .value_kind:     by_value
      - .offset:         136
        .size:           4
        .value_kind:     hidden_block_count_x
      - .offset:         140
        .size:           4
        .value_kind:     hidden_block_count_y
      - .offset:         144
        .size:           4
        .value_kind:     hidden_block_count_z
      - .offset:         148
        .size:           2
        .value_kind:     hidden_group_size_x
      - .offset:         150
        .size:           2
        .value_kind:     hidden_group_size_y
      - .offset:         152
        .size:           2
        .value_kind:     hidden_group_size_z
      - .offset:         154
        .size:           2
        .value_kind:     hidden_remainder_x
      - .offset:         156
        .size:           2
        .value_kind:     hidden_remainder_y
      - .offset:         158
        .size:           2
        .value_kind:     hidden_remainder_z
      - .offset:         176
        .size:           8
        .value_kind:     hidden_global_offset_x
      - .offset:         184
        .size:           8
        .value_kind:     hidden_global_offset_y
      - .offset:         192
        .size:           8
        .value_kind:     hidden_global_offset_z
      - .offset:         200
        .size:           2
        .value_kind:     hidden_grid_dims
    .group_segment_fixed_size: 448
    .kernarg_segment_align: 8
    .kernarg_segment_size: 392
    .language:       OpenCL C
    .language_version:
      - 2
      - 0
    .max_flat_workgroup_size: 64
    .name:           _ZN9rocsparseL29bsrmmnt_small_blockdim_kernelILj64ELj16ELj2EiiaaffEEv20rocsparse_direction_T3_S2_llNS_24const_host_device_scalarIT7_EEPKT2_PKS2_PKT4_PKT5_llS5_PT6_ll16rocsparse_order_21rocsparse_index_base_b
    .private_segment_fixed_size: 0
    .sgpr_count:     28
    .sgpr_spill_count: 0
    .symbol:         _ZN9rocsparseL29bsrmmnt_small_blockdim_kernelILj64ELj16ELj2EiiaaffEEv20rocsparse_direction_T3_S2_llNS_24const_host_device_scalarIT7_EEPKT2_PKS2_PKT4_PKT5_llS5_PT6_ll16rocsparse_order_21rocsparse_index_base_b.kd
    .uniform_work_group_size: 1
    .uses_dynamic_stack: false
    .vgpr_count:     32
    .vgpr_spill_count: 0
    .wavefront_size: 32
  - .args:
      - .offset:         0
        .size:           4
        .value_kind:     by_value
      - .offset:         4
        .size:           4
        .value_kind:     by_value
      - .offset:         8
        .size:           4
        .value_kind:     by_value
      - .offset:         16
        .size:           8
        .value_kind:     by_value
      - .offset:         24
        .size:           8
        .value_kind:     by_value
      - .offset:         32
        .size:           8
        .value_kind:     by_value
      - .actual_access:  read_only
        .address_space:  global
        .offset:         40
        .size:           8
        .value_kind:     global_buffer
      - .actual_access:  read_only
        .address_space:  global
        .offset:         48
        .size:           8
        .value_kind:     global_buffer
      - .actual_access:  read_only
        .address_space:  global
        .offset:         56
        .size:           8
        .value_kind:     global_buffer
      - .actual_access:  read_only
        .address_space:  global
        .offset:         64
        .size:           8
        .value_kind:     global_buffer
      - .offset:         72
        .size:           8
        .value_kind:     by_value
      - .offset:         80
        .size:           8
        .value_kind:     by_value
      - .offset:         88
        .size:           8
        .value_kind:     by_value
      - .address_space:  global
        .offset:         96
        .size:           8
        .value_kind:     global_buffer
      - .offset:         104
        .size:           8
        .value_kind:     by_value
      - .offset:         112
        .size:           8
        .value_kind:     by_value
      - .offset:         120
        .size:           4
        .value_kind:     by_value
      - .offset:         124
        .size:           4
        .value_kind:     by_value
      - .offset:         128
        .size:           1
        .value_kind:     by_value
      - .offset:         136
        .size:           4
        .value_kind:     hidden_block_count_x
      - .offset:         140
        .size:           4
        .value_kind:     hidden_block_count_y
      - .offset:         144
        .size:           4
        .value_kind:     hidden_block_count_z
      - .offset:         148
        .size:           2
        .value_kind:     hidden_group_size_x
      - .offset:         150
        .size:           2
        .value_kind:     hidden_group_size_y
      - .offset:         152
        .size:           2
        .value_kind:     hidden_group_size_z
      - .offset:         154
        .size:           2
        .value_kind:     hidden_remainder_x
      - .offset:         156
        .size:           2
        .value_kind:     hidden_remainder_y
      - .offset:         158
        .size:           2
        .value_kind:     hidden_remainder_z
      - .offset:         176
        .size:           8
        .value_kind:     hidden_global_offset_x
      - .offset:         184
        .size:           8
        .value_kind:     hidden_global_offset_y
      - .offset:         192
        .size:           8
        .value_kind:     hidden_global_offset_z
      - .offset:         200
        .size:           2
        .value_kind:     hidden_grid_dims
    .group_segment_fixed_size: 448
    .kernarg_segment_align: 8
    .kernarg_segment_size: 392
    .language:       OpenCL C
    .language_version:
      - 2
      - 0
    .max_flat_workgroup_size: 64
    .name:           _ZN9rocsparseL29bsrmmnt_small_blockdim_kernelILj64ELj32ELj2EiiaaffEEv20rocsparse_direction_T3_S2_llNS_24const_host_device_scalarIT7_EEPKT2_PKS2_PKT4_PKT5_llS5_PT6_ll16rocsparse_order_21rocsparse_index_base_b
    .private_segment_fixed_size: 0
    .sgpr_count:     28
    .sgpr_spill_count: 0
    .symbol:         _ZN9rocsparseL29bsrmmnt_small_blockdim_kernelILj64ELj32ELj2EiiaaffEEv20rocsparse_direction_T3_S2_llNS_24const_host_device_scalarIT7_EEPKT2_PKS2_PKT4_PKT5_llS5_PT6_ll16rocsparse_order_21rocsparse_index_base_b.kd
    .uniform_work_group_size: 1
    .uses_dynamic_stack: false
    .vgpr_count:     32
    .vgpr_spill_count: 0
    .wavefront_size: 32
  - .args:
      - .offset:         0
        .size:           4
        .value_kind:     by_value
      - .offset:         4
        .size:           4
        .value_kind:     by_value
      - .offset:         8
        .size:           4
        .value_kind:     by_value
      - .offset:         16
        .size:           8
        .value_kind:     by_value
      - .offset:         24
        .size:           8
        .value_kind:     by_value
      - .offset:         32
        .size:           8
        .value_kind:     by_value
      - .actual_access:  read_only
        .address_space:  global
        .offset:         40
        .size:           8
        .value_kind:     global_buffer
      - .actual_access:  read_only
        .address_space:  global
        .offset:         48
        .size:           8
        .value_kind:     global_buffer
      - .actual_access:  read_only
        .address_space:  global
        .offset:         56
        .size:           8
        .value_kind:     global_buffer
      - .actual_access:  read_only
        .address_space:  global
        .offset:         64
        .size:           8
        .value_kind:     global_buffer
      - .offset:         72
        .size:           8
        .value_kind:     by_value
      - .offset:         80
        .size:           8
        .value_kind:     by_value
      - .offset:         88
        .size:           8
        .value_kind:     by_value
      - .address_space:  global
        .offset:         96
        .size:           8
        .value_kind:     global_buffer
      - .offset:         104
        .size:           8
        .value_kind:     by_value
      - .offset:         112
        .size:           8
        .value_kind:     by_value
      - .offset:         120
        .size:           4
        .value_kind:     by_value
      - .offset:         124
        .size:           4
        .value_kind:     by_value
      - .offset:         128
        .size:           1
        .value_kind:     by_value
      - .offset:         136
        .size:           4
        .value_kind:     hidden_block_count_x
      - .offset:         140
        .size:           4
        .value_kind:     hidden_block_count_y
      - .offset:         144
        .size:           4
        .value_kind:     hidden_block_count_z
      - .offset:         148
        .size:           2
        .value_kind:     hidden_group_size_x
      - .offset:         150
        .size:           2
        .value_kind:     hidden_group_size_y
      - .offset:         152
        .size:           2
        .value_kind:     hidden_group_size_z
      - .offset:         154
        .size:           2
        .value_kind:     hidden_remainder_x
      - .offset:         156
        .size:           2
        .value_kind:     hidden_remainder_y
      - .offset:         158
        .size:           2
        .value_kind:     hidden_remainder_z
      - .offset:         176
        .size:           8
        .value_kind:     hidden_global_offset_x
      - .offset:         184
        .size:           8
        .value_kind:     hidden_global_offset_y
      - .offset:         192
        .size:           8
        .value_kind:     hidden_global_offset_z
      - .offset:         200
        .size:           2
        .value_kind:     hidden_grid_dims
    .group_segment_fixed_size: 448
    .kernarg_segment_align: 8
    .kernarg_segment_size: 392
    .language:       OpenCL C
    .language_version:
      - 2
      - 0
    .max_flat_workgroup_size: 64
    .name:           _ZN9rocsparseL29bsrmmnt_small_blockdim_kernelILj64ELj64ELj2EiiaaffEEv20rocsparse_direction_T3_S2_llNS_24const_host_device_scalarIT7_EEPKT2_PKS2_PKT4_PKT5_llS5_PT6_ll16rocsparse_order_21rocsparse_index_base_b
    .private_segment_fixed_size: 0
    .sgpr_count:     31
    .sgpr_spill_count: 0
    .symbol:         _ZN9rocsparseL29bsrmmnt_small_blockdim_kernelILj64ELj64ELj2EiiaaffEEv20rocsparse_direction_T3_S2_llNS_24const_host_device_scalarIT7_EEPKT2_PKS2_PKT4_PKT5_llS5_PT6_ll16rocsparse_order_21rocsparse_index_base_b.kd
    .uniform_work_group_size: 1
    .uses_dynamic_stack: false
    .vgpr_count:     26
    .vgpr_spill_count: 0
    .wavefront_size: 32
  - .args:
      - .offset:         0
        .size:           4
        .value_kind:     by_value
      - .offset:         4
        .size:           4
        .value_kind:     by_value
      - .offset:         8
        .size:           4
        .value_kind:     by_value
      - .offset:         16
        .size:           8
        .value_kind:     by_value
      - .offset:         24
        .size:           8
        .value_kind:     by_value
      - .offset:         32
        .size:           8
        .value_kind:     by_value
      - .actual_access:  read_only
        .address_space:  global
        .offset:         40
        .size:           8
        .value_kind:     global_buffer
      - .actual_access:  read_only
        .address_space:  global
        .offset:         48
        .size:           8
        .value_kind:     global_buffer
      - .actual_access:  read_only
        .address_space:  global
        .offset:         56
        .size:           8
        .value_kind:     global_buffer
      - .actual_access:  read_only
        .address_space:  global
        .offset:         64
        .size:           8
        .value_kind:     global_buffer
      - .offset:         72
        .size:           8
        .value_kind:     by_value
      - .offset:         80
        .size:           8
        .value_kind:     by_value
      - .offset:         88
        .size:           8
        .value_kind:     by_value
      - .address_space:  global
        .offset:         96
        .size:           8
        .value_kind:     global_buffer
      - .offset:         104
        .size:           8
        .value_kind:     by_value
      - .offset:         112
        .size:           8
        .value_kind:     by_value
      - .offset:         120
        .size:           4
        .value_kind:     by_value
      - .offset:         124
        .size:           4
        .value_kind:     by_value
      - .offset:         128
        .size:           1
        .value_kind:     by_value
      - .offset:         136
        .size:           4
        .value_kind:     hidden_block_count_x
      - .offset:         140
        .size:           4
        .value_kind:     hidden_block_count_y
      - .offset:         144
        .size:           4
        .value_kind:     hidden_block_count_z
      - .offset:         148
        .size:           2
        .value_kind:     hidden_group_size_x
      - .offset:         150
        .size:           2
        .value_kind:     hidden_group_size_y
      - .offset:         152
        .size:           2
        .value_kind:     hidden_group_size_z
      - .offset:         154
        .size:           2
        .value_kind:     hidden_remainder_x
      - .offset:         156
        .size:           2
        .value_kind:     hidden_remainder_y
      - .offset:         158
        .size:           2
        .value_kind:     hidden_remainder_z
      - .offset:         176
        .size:           8
        .value_kind:     hidden_global_offset_x
      - .offset:         184
        .size:           8
        .value_kind:     hidden_global_offset_y
      - .offset:         192
        .size:           8
        .value_kind:     hidden_global_offset_z
      - .offset:         200
        .size:           2
        .value_kind:     hidden_grid_dims
    .group_segment_fixed_size: 448
    .kernarg_segment_align: 8
    .kernarg_segment_size: 392
    .language:       OpenCL C
    .language_version:
      - 2
      - 0
    .max_flat_workgroup_size: 64
    .name:           _ZN9rocsparseL29bsrmmnt_small_blockdim_kernelILj64ELj8ELj2EliaaffEEv20rocsparse_direction_T3_S2_llNS_24const_host_device_scalarIT7_EEPKT2_PKS2_PKT4_PKT5_llS5_PT6_ll16rocsparse_order_21rocsparse_index_base_b
    .private_segment_fixed_size: 0
    .sgpr_count:     28
    .sgpr_spill_count: 0
    .symbol:         _ZN9rocsparseL29bsrmmnt_small_blockdim_kernelILj64ELj8ELj2EliaaffEEv20rocsparse_direction_T3_S2_llNS_24const_host_device_scalarIT7_EEPKT2_PKS2_PKT4_PKT5_llS5_PT6_ll16rocsparse_order_21rocsparse_index_base_b.kd
    .uniform_work_group_size: 1
    .uses_dynamic_stack: false
    .vgpr_count:     36
    .vgpr_spill_count: 0
    .wavefront_size: 32
  - .args:
      - .offset:         0
        .size:           4
        .value_kind:     by_value
      - .offset:         4
        .size:           4
        .value_kind:     by_value
      - .offset:         8
        .size:           4
        .value_kind:     by_value
      - .offset:         16
        .size:           8
        .value_kind:     by_value
      - .offset:         24
        .size:           8
        .value_kind:     by_value
      - .offset:         32
        .size:           8
        .value_kind:     by_value
      - .actual_access:  read_only
        .address_space:  global
        .offset:         40
        .size:           8
        .value_kind:     global_buffer
      - .actual_access:  read_only
        .address_space:  global
        .offset:         48
        .size:           8
        .value_kind:     global_buffer
      - .actual_access:  read_only
        .address_space:  global
        .offset:         56
        .size:           8
        .value_kind:     global_buffer
      - .actual_access:  read_only
        .address_space:  global
        .offset:         64
        .size:           8
        .value_kind:     global_buffer
      - .offset:         72
        .size:           8
        .value_kind:     by_value
      - .offset:         80
        .size:           8
        .value_kind:     by_value
      - .offset:         88
        .size:           8
        .value_kind:     by_value
      - .address_space:  global
        .offset:         96
        .size:           8
        .value_kind:     global_buffer
      - .offset:         104
        .size:           8
        .value_kind:     by_value
      - .offset:         112
        .size:           8
        .value_kind:     by_value
      - .offset:         120
        .size:           4
        .value_kind:     by_value
      - .offset:         124
        .size:           4
        .value_kind:     by_value
      - .offset:         128
        .size:           1
        .value_kind:     by_value
      - .offset:         136
        .size:           4
        .value_kind:     hidden_block_count_x
      - .offset:         140
        .size:           4
        .value_kind:     hidden_block_count_y
      - .offset:         144
        .size:           4
        .value_kind:     hidden_block_count_z
      - .offset:         148
        .size:           2
        .value_kind:     hidden_group_size_x
      - .offset:         150
        .size:           2
        .value_kind:     hidden_group_size_y
      - .offset:         152
        .size:           2
        .value_kind:     hidden_group_size_z
      - .offset:         154
        .size:           2
        .value_kind:     hidden_remainder_x
      - .offset:         156
        .size:           2
        .value_kind:     hidden_remainder_y
      - .offset:         158
        .size:           2
        .value_kind:     hidden_remainder_z
      - .offset:         176
        .size:           8
        .value_kind:     hidden_global_offset_x
      - .offset:         184
        .size:           8
        .value_kind:     hidden_global_offset_y
      - .offset:         192
        .size:           8
        .value_kind:     hidden_global_offset_z
      - .offset:         200
        .size:           2
        .value_kind:     hidden_grid_dims
    .group_segment_fixed_size: 448
    .kernarg_segment_align: 8
    .kernarg_segment_size: 392
    .language:       OpenCL C
    .language_version:
      - 2
      - 0
    .max_flat_workgroup_size: 64
    .name:           _ZN9rocsparseL29bsrmmnt_small_blockdim_kernelILj64ELj16ELj2EliaaffEEv20rocsparse_direction_T3_S2_llNS_24const_host_device_scalarIT7_EEPKT2_PKS2_PKT4_PKT5_llS5_PT6_ll16rocsparse_order_21rocsparse_index_base_b
    .private_segment_fixed_size: 0
    .sgpr_count:     28
    .sgpr_spill_count: 0
    .symbol:         _ZN9rocsparseL29bsrmmnt_small_blockdim_kernelILj64ELj16ELj2EliaaffEEv20rocsparse_direction_T3_S2_llNS_24const_host_device_scalarIT7_EEPKT2_PKS2_PKT4_PKT5_llS5_PT6_ll16rocsparse_order_21rocsparse_index_base_b.kd
    .uniform_work_group_size: 1
    .uses_dynamic_stack: false
    .vgpr_count:     36
    .vgpr_spill_count: 0
    .wavefront_size: 32
  - .args:
      - .offset:         0
        .size:           4
        .value_kind:     by_value
      - .offset:         4
        .size:           4
        .value_kind:     by_value
      - .offset:         8
        .size:           4
        .value_kind:     by_value
      - .offset:         16
        .size:           8
        .value_kind:     by_value
      - .offset:         24
        .size:           8
        .value_kind:     by_value
      - .offset:         32
        .size:           8
        .value_kind:     by_value
      - .actual_access:  read_only
        .address_space:  global
        .offset:         40
        .size:           8
        .value_kind:     global_buffer
      - .actual_access:  read_only
        .address_space:  global
        .offset:         48
        .size:           8
        .value_kind:     global_buffer
      - .actual_access:  read_only
        .address_space:  global
        .offset:         56
        .size:           8
        .value_kind:     global_buffer
      - .actual_access:  read_only
        .address_space:  global
        .offset:         64
        .size:           8
        .value_kind:     global_buffer
      - .offset:         72
        .size:           8
        .value_kind:     by_value
      - .offset:         80
        .size:           8
        .value_kind:     by_value
      - .offset:         88
        .size:           8
        .value_kind:     by_value
      - .address_space:  global
        .offset:         96
        .size:           8
        .value_kind:     global_buffer
      - .offset:         104
        .size:           8
        .value_kind:     by_value
      - .offset:         112
        .size:           8
        .value_kind:     by_value
      - .offset:         120
        .size:           4
        .value_kind:     by_value
      - .offset:         124
        .size:           4
        .value_kind:     by_value
      - .offset:         128
        .size:           1
        .value_kind:     by_value
      - .offset:         136
        .size:           4
        .value_kind:     hidden_block_count_x
      - .offset:         140
        .size:           4
        .value_kind:     hidden_block_count_y
      - .offset:         144
        .size:           4
        .value_kind:     hidden_block_count_z
      - .offset:         148
        .size:           2
        .value_kind:     hidden_group_size_x
      - .offset:         150
        .size:           2
        .value_kind:     hidden_group_size_y
      - .offset:         152
        .size:           2
        .value_kind:     hidden_group_size_z
      - .offset:         154
        .size:           2
        .value_kind:     hidden_remainder_x
      - .offset:         156
        .size:           2
        .value_kind:     hidden_remainder_y
      - .offset:         158
        .size:           2
        .value_kind:     hidden_remainder_z
      - .offset:         176
        .size:           8
        .value_kind:     hidden_global_offset_x
      - .offset:         184
        .size:           8
        .value_kind:     hidden_global_offset_y
      - .offset:         192
        .size:           8
        .value_kind:     hidden_global_offset_z
      - .offset:         200
        .size:           2
        .value_kind:     hidden_grid_dims
    .group_segment_fixed_size: 448
    .kernarg_segment_align: 8
    .kernarg_segment_size: 392
    .language:       OpenCL C
    .language_version:
      - 2
      - 0
    .max_flat_workgroup_size: 64
    .name:           _ZN9rocsparseL29bsrmmnt_small_blockdim_kernelILj64ELj32ELj2EliaaffEEv20rocsparse_direction_T3_S2_llNS_24const_host_device_scalarIT7_EEPKT2_PKS2_PKT4_PKT5_llS5_PT6_ll16rocsparse_order_21rocsparse_index_base_b
    .private_segment_fixed_size: 0
    .sgpr_count:     28
    .sgpr_spill_count: 0
    .symbol:         _ZN9rocsparseL29bsrmmnt_small_blockdim_kernelILj64ELj32ELj2EliaaffEEv20rocsparse_direction_T3_S2_llNS_24const_host_device_scalarIT7_EEPKT2_PKS2_PKT4_PKT5_llS5_PT6_ll16rocsparse_order_21rocsparse_index_base_b.kd
    .uniform_work_group_size: 1
    .uses_dynamic_stack: false
    .vgpr_count:     36
    .vgpr_spill_count: 0
    .wavefront_size: 32
  - .args:
      - .offset:         0
        .size:           4
        .value_kind:     by_value
      - .offset:         4
        .size:           4
        .value_kind:     by_value
      - .offset:         8
        .size:           4
        .value_kind:     by_value
      - .offset:         16
        .size:           8
        .value_kind:     by_value
      - .offset:         24
        .size:           8
        .value_kind:     by_value
      - .offset:         32
        .size:           8
        .value_kind:     by_value
      - .actual_access:  read_only
        .address_space:  global
        .offset:         40
        .size:           8
        .value_kind:     global_buffer
      - .actual_access:  read_only
        .address_space:  global
        .offset:         48
        .size:           8
        .value_kind:     global_buffer
      - .actual_access:  read_only
        .address_space:  global
        .offset:         56
        .size:           8
        .value_kind:     global_buffer
      - .actual_access:  read_only
        .address_space:  global
        .offset:         64
        .size:           8
        .value_kind:     global_buffer
      - .offset:         72
        .size:           8
        .value_kind:     by_value
      - .offset:         80
        .size:           8
        .value_kind:     by_value
      - .offset:         88
        .size:           8
        .value_kind:     by_value
      - .address_space:  global
        .offset:         96
        .size:           8
        .value_kind:     global_buffer
      - .offset:         104
        .size:           8
        .value_kind:     by_value
      - .offset:         112
        .size:           8
        .value_kind:     by_value
      - .offset:         120
        .size:           4
        .value_kind:     by_value
      - .offset:         124
        .size:           4
        .value_kind:     by_value
      - .offset:         128
        .size:           1
        .value_kind:     by_value
      - .offset:         136
        .size:           4
        .value_kind:     hidden_block_count_x
      - .offset:         140
        .size:           4
        .value_kind:     hidden_block_count_y
      - .offset:         144
        .size:           4
        .value_kind:     hidden_block_count_z
      - .offset:         148
        .size:           2
        .value_kind:     hidden_group_size_x
      - .offset:         150
        .size:           2
        .value_kind:     hidden_group_size_y
      - .offset:         152
        .size:           2
        .value_kind:     hidden_group_size_z
      - .offset:         154
        .size:           2
        .value_kind:     hidden_remainder_x
      - .offset:         156
        .size:           2
        .value_kind:     hidden_remainder_y
      - .offset:         158
        .size:           2
        .value_kind:     hidden_remainder_z
      - .offset:         176
        .size:           8
        .value_kind:     hidden_global_offset_x
      - .offset:         184
        .size:           8
        .value_kind:     hidden_global_offset_y
      - .offset:         192
        .size:           8
        .value_kind:     hidden_global_offset_z
      - .offset:         200
        .size:           2
        .value_kind:     hidden_grid_dims
    .group_segment_fixed_size: 448
    .kernarg_segment_align: 8
    .kernarg_segment_size: 392
    .language:       OpenCL C
    .language_version:
      - 2
      - 0
    .max_flat_workgroup_size: 64
    .name:           _ZN9rocsparseL29bsrmmnt_small_blockdim_kernelILj64ELj64ELj2EliaaffEEv20rocsparse_direction_T3_S2_llNS_24const_host_device_scalarIT7_EEPKT2_PKS2_PKT4_PKT5_llS5_PT6_ll16rocsparse_order_21rocsparse_index_base_b
    .private_segment_fixed_size: 0
    .sgpr_count:     31
    .sgpr_spill_count: 0
    .symbol:         _ZN9rocsparseL29bsrmmnt_small_blockdim_kernelILj64ELj64ELj2EliaaffEEv20rocsparse_direction_T3_S2_llNS_24const_host_device_scalarIT7_EEPKT2_PKS2_PKT4_PKT5_llS5_PT6_ll16rocsparse_order_21rocsparse_index_base_b.kd
    .uniform_work_group_size: 1
    .uses_dynamic_stack: false
    .vgpr_count:     32
    .vgpr_spill_count: 0
    .wavefront_size: 32
  - .args:
      - .offset:         0
        .size:           4
        .value_kind:     by_value
      - .offset:         8
        .size:           8
        .value_kind:     by_value
      - .offset:         16
        .size:           8
        .value_kind:     by_value
      - .offset:         24
        .size:           8
        .value_kind:     by_value
      - .offset:         32
        .size:           8
        .value_kind:     by_value
      - .offset:         40
        .size:           8
        .value_kind:     by_value
      - .actual_access:  read_only
        .address_space:  global
        .offset:         48
        .size:           8
        .value_kind:     global_buffer
      - .actual_access:  read_only
        .address_space:  global
        .offset:         56
        .size:           8
        .value_kind:     global_buffer
      - .actual_access:  read_only
        .address_space:  global
        .offset:         64
        .size:           8
        .value_kind:     global_buffer
      - .actual_access:  read_only
        .address_space:  global
        .offset:         72
        .size:           8
        .value_kind:     global_buffer
      - .offset:         80
        .size:           8
        .value_kind:     by_value
      - .offset:         88
        .size:           8
        .value_kind:     by_value
      - .offset:         96
        .size:           8
        .value_kind:     by_value
      - .address_space:  global
        .offset:         104
        .size:           8
        .value_kind:     global_buffer
      - .offset:         112
        .size:           8
        .value_kind:     by_value
      - .offset:         120
        .size:           8
        .value_kind:     by_value
      - .offset:         128
        .size:           4
        .value_kind:     by_value
      - .offset:         132
        .size:           4
        .value_kind:     by_value
      - .offset:         136
        .size:           1
        .value_kind:     by_value
      - .offset:         144
        .size:           4
        .value_kind:     hidden_block_count_x
      - .offset:         148
        .size:           4
        .value_kind:     hidden_block_count_y
      - .offset:         152
        .size:           4
        .value_kind:     hidden_block_count_z
      - .offset:         156
        .size:           2
        .value_kind:     hidden_group_size_x
      - .offset:         158
        .size:           2
        .value_kind:     hidden_group_size_y
      - .offset:         160
        .size:           2
        .value_kind:     hidden_group_size_z
      - .offset:         162
        .size:           2
        .value_kind:     hidden_remainder_x
      - .offset:         164
        .size:           2
        .value_kind:     hidden_remainder_y
      - .offset:         166
        .size:           2
        .value_kind:     hidden_remainder_z
      - .offset:         184
        .size:           8
        .value_kind:     hidden_global_offset_x
      - .offset:         192
        .size:           8
        .value_kind:     hidden_global_offset_y
      - .offset:         200
        .size:           8
        .value_kind:     hidden_global_offset_z
      - .offset:         208
        .size:           2
        .value_kind:     hidden_grid_dims
    .group_segment_fixed_size: 704
    .kernarg_segment_align: 8
    .kernarg_segment_size: 400
    .language:       OpenCL C
    .language_version:
      - 2
      - 0
    .max_flat_workgroup_size: 64
    .name:           _ZN9rocsparseL29bsrmmnt_small_blockdim_kernelILj64ELj8ELj2EllaaffEEv20rocsparse_direction_T3_S2_llNS_24const_host_device_scalarIT7_EEPKT2_PKS2_PKT4_PKT5_llS5_PT6_ll16rocsparse_order_21rocsparse_index_base_b
    .private_segment_fixed_size: 0
    .sgpr_count:     28
    .sgpr_spill_count: 0
    .symbol:         _ZN9rocsparseL29bsrmmnt_small_blockdim_kernelILj64ELj8ELj2EllaaffEEv20rocsparse_direction_T3_S2_llNS_24const_host_device_scalarIT7_EEPKT2_PKS2_PKT4_PKT5_llS5_PT6_ll16rocsparse_order_21rocsparse_index_base_b.kd
    .uniform_work_group_size: 1
    .uses_dynamic_stack: false
    .vgpr_count:     34
    .vgpr_spill_count: 0
    .wavefront_size: 32
  - .args:
      - .offset:         0
        .size:           4
        .value_kind:     by_value
      - .offset:         8
        .size:           8
        .value_kind:     by_value
      - .offset:         16
        .size:           8
        .value_kind:     by_value
      - .offset:         24
        .size:           8
        .value_kind:     by_value
      - .offset:         32
        .size:           8
        .value_kind:     by_value
      - .offset:         40
        .size:           8
        .value_kind:     by_value
      - .actual_access:  read_only
        .address_space:  global
        .offset:         48
        .size:           8
        .value_kind:     global_buffer
      - .actual_access:  read_only
        .address_space:  global
        .offset:         56
        .size:           8
        .value_kind:     global_buffer
      - .actual_access:  read_only
        .address_space:  global
        .offset:         64
        .size:           8
        .value_kind:     global_buffer
      - .actual_access:  read_only
        .address_space:  global
        .offset:         72
        .size:           8
        .value_kind:     global_buffer
      - .offset:         80
        .size:           8
        .value_kind:     by_value
      - .offset:         88
        .size:           8
        .value_kind:     by_value
      - .offset:         96
        .size:           8
        .value_kind:     by_value
      - .address_space:  global
        .offset:         104
        .size:           8
        .value_kind:     global_buffer
      - .offset:         112
        .size:           8
        .value_kind:     by_value
      - .offset:         120
        .size:           8
        .value_kind:     by_value
      - .offset:         128
        .size:           4
        .value_kind:     by_value
      - .offset:         132
        .size:           4
        .value_kind:     by_value
      - .offset:         136
        .size:           1
        .value_kind:     by_value
      - .offset:         144
        .size:           4
        .value_kind:     hidden_block_count_x
      - .offset:         148
        .size:           4
        .value_kind:     hidden_block_count_y
      - .offset:         152
        .size:           4
        .value_kind:     hidden_block_count_z
      - .offset:         156
        .size:           2
        .value_kind:     hidden_group_size_x
      - .offset:         158
        .size:           2
        .value_kind:     hidden_group_size_y
      - .offset:         160
        .size:           2
        .value_kind:     hidden_group_size_z
      - .offset:         162
        .size:           2
        .value_kind:     hidden_remainder_x
      - .offset:         164
        .size:           2
        .value_kind:     hidden_remainder_y
      - .offset:         166
        .size:           2
        .value_kind:     hidden_remainder_z
      - .offset:         184
        .size:           8
        .value_kind:     hidden_global_offset_x
      - .offset:         192
        .size:           8
        .value_kind:     hidden_global_offset_y
      - .offset:         200
        .size:           8
        .value_kind:     hidden_global_offset_z
      - .offset:         208
        .size:           2
        .value_kind:     hidden_grid_dims
    .group_segment_fixed_size: 704
    .kernarg_segment_align: 8
    .kernarg_segment_size: 400
    .language:       OpenCL C
    .language_version:
      - 2
      - 0
    .max_flat_workgroup_size: 64
    .name:           _ZN9rocsparseL29bsrmmnt_small_blockdim_kernelILj64ELj16ELj2EllaaffEEv20rocsparse_direction_T3_S2_llNS_24const_host_device_scalarIT7_EEPKT2_PKS2_PKT4_PKT5_llS5_PT6_ll16rocsparse_order_21rocsparse_index_base_b
    .private_segment_fixed_size: 0
    .sgpr_count:     28
    .sgpr_spill_count: 0
    .symbol:         _ZN9rocsparseL29bsrmmnt_small_blockdim_kernelILj64ELj16ELj2EllaaffEEv20rocsparse_direction_T3_S2_llNS_24const_host_device_scalarIT7_EEPKT2_PKS2_PKT4_PKT5_llS5_PT6_ll16rocsparse_order_21rocsparse_index_base_b.kd
    .uniform_work_group_size: 1
    .uses_dynamic_stack: false
    .vgpr_count:     34
    .vgpr_spill_count: 0
    .wavefront_size: 32
  - .args:
      - .offset:         0
        .size:           4
        .value_kind:     by_value
      - .offset:         8
        .size:           8
        .value_kind:     by_value
      - .offset:         16
        .size:           8
        .value_kind:     by_value
      - .offset:         24
        .size:           8
        .value_kind:     by_value
      - .offset:         32
        .size:           8
        .value_kind:     by_value
      - .offset:         40
        .size:           8
        .value_kind:     by_value
      - .actual_access:  read_only
        .address_space:  global
        .offset:         48
        .size:           8
        .value_kind:     global_buffer
      - .actual_access:  read_only
        .address_space:  global
        .offset:         56
        .size:           8
        .value_kind:     global_buffer
      - .actual_access:  read_only
        .address_space:  global
        .offset:         64
        .size:           8
        .value_kind:     global_buffer
      - .actual_access:  read_only
        .address_space:  global
        .offset:         72
        .size:           8
        .value_kind:     global_buffer
      - .offset:         80
        .size:           8
        .value_kind:     by_value
      - .offset:         88
        .size:           8
        .value_kind:     by_value
      - .offset:         96
        .size:           8
        .value_kind:     by_value
      - .address_space:  global
        .offset:         104
        .size:           8
        .value_kind:     global_buffer
      - .offset:         112
        .size:           8
        .value_kind:     by_value
      - .offset:         120
        .size:           8
        .value_kind:     by_value
      - .offset:         128
        .size:           4
        .value_kind:     by_value
      - .offset:         132
        .size:           4
        .value_kind:     by_value
      - .offset:         136
        .size:           1
        .value_kind:     by_value
      - .offset:         144
        .size:           4
        .value_kind:     hidden_block_count_x
      - .offset:         148
        .size:           4
        .value_kind:     hidden_block_count_y
      - .offset:         152
        .size:           4
        .value_kind:     hidden_block_count_z
      - .offset:         156
        .size:           2
        .value_kind:     hidden_group_size_x
      - .offset:         158
        .size:           2
        .value_kind:     hidden_group_size_y
      - .offset:         160
        .size:           2
        .value_kind:     hidden_group_size_z
      - .offset:         162
        .size:           2
        .value_kind:     hidden_remainder_x
      - .offset:         164
        .size:           2
        .value_kind:     hidden_remainder_y
      - .offset:         166
        .size:           2
        .value_kind:     hidden_remainder_z
      - .offset:         184
        .size:           8
        .value_kind:     hidden_global_offset_x
      - .offset:         192
        .size:           8
        .value_kind:     hidden_global_offset_y
      - .offset:         200
        .size:           8
        .value_kind:     hidden_global_offset_z
      - .offset:         208
        .size:           2
        .value_kind:     hidden_grid_dims
    .group_segment_fixed_size: 704
    .kernarg_segment_align: 8
    .kernarg_segment_size: 400
    .language:       OpenCL C
    .language_version:
      - 2
      - 0
    .max_flat_workgroup_size: 64
    .name:           _ZN9rocsparseL29bsrmmnt_small_blockdim_kernelILj64ELj32ELj2EllaaffEEv20rocsparse_direction_T3_S2_llNS_24const_host_device_scalarIT7_EEPKT2_PKS2_PKT4_PKT5_llS5_PT6_ll16rocsparse_order_21rocsparse_index_base_b
    .private_segment_fixed_size: 0
    .sgpr_count:     28
    .sgpr_spill_count: 0
    .symbol:         _ZN9rocsparseL29bsrmmnt_small_blockdim_kernelILj64ELj32ELj2EllaaffEEv20rocsparse_direction_T3_S2_llNS_24const_host_device_scalarIT7_EEPKT2_PKS2_PKT4_PKT5_llS5_PT6_ll16rocsparse_order_21rocsparse_index_base_b.kd
    .uniform_work_group_size: 1
    .uses_dynamic_stack: false
    .vgpr_count:     34
    .vgpr_spill_count: 0
    .wavefront_size: 32
  - .args:
      - .offset:         0
        .size:           4
        .value_kind:     by_value
      - .offset:         8
        .size:           8
        .value_kind:     by_value
      - .offset:         16
        .size:           8
        .value_kind:     by_value
      - .offset:         24
        .size:           8
        .value_kind:     by_value
      - .offset:         32
        .size:           8
        .value_kind:     by_value
      - .offset:         40
        .size:           8
        .value_kind:     by_value
      - .actual_access:  read_only
        .address_space:  global
        .offset:         48
        .size:           8
        .value_kind:     global_buffer
      - .actual_access:  read_only
        .address_space:  global
        .offset:         56
        .size:           8
        .value_kind:     global_buffer
      - .actual_access:  read_only
        .address_space:  global
        .offset:         64
        .size:           8
        .value_kind:     global_buffer
      - .actual_access:  read_only
        .address_space:  global
        .offset:         72
        .size:           8
        .value_kind:     global_buffer
      - .offset:         80
        .size:           8
        .value_kind:     by_value
      - .offset:         88
        .size:           8
        .value_kind:     by_value
      - .offset:         96
        .size:           8
        .value_kind:     by_value
      - .address_space:  global
        .offset:         104
        .size:           8
        .value_kind:     global_buffer
      - .offset:         112
        .size:           8
        .value_kind:     by_value
      - .offset:         120
        .size:           8
        .value_kind:     by_value
      - .offset:         128
        .size:           4
        .value_kind:     by_value
      - .offset:         132
        .size:           4
        .value_kind:     by_value
      - .offset:         136
        .size:           1
        .value_kind:     by_value
      - .offset:         144
        .size:           4
        .value_kind:     hidden_block_count_x
      - .offset:         148
        .size:           4
        .value_kind:     hidden_block_count_y
      - .offset:         152
        .size:           4
        .value_kind:     hidden_block_count_z
      - .offset:         156
        .size:           2
        .value_kind:     hidden_group_size_x
      - .offset:         158
        .size:           2
        .value_kind:     hidden_group_size_y
      - .offset:         160
        .size:           2
        .value_kind:     hidden_group_size_z
      - .offset:         162
        .size:           2
        .value_kind:     hidden_remainder_x
      - .offset:         164
        .size:           2
        .value_kind:     hidden_remainder_y
      - .offset:         166
        .size:           2
        .value_kind:     hidden_remainder_z
      - .offset:         184
        .size:           8
        .value_kind:     hidden_global_offset_x
      - .offset:         192
        .size:           8
        .value_kind:     hidden_global_offset_y
      - .offset:         200
        .size:           8
        .value_kind:     hidden_global_offset_z
      - .offset:         208
        .size:           2
        .value_kind:     hidden_grid_dims
    .group_segment_fixed_size: 704
    .kernarg_segment_align: 8
    .kernarg_segment_size: 400
    .language:       OpenCL C
    .language_version:
      - 2
      - 0
    .max_flat_workgroup_size: 64
    .name:           _ZN9rocsparseL29bsrmmnt_small_blockdim_kernelILj64ELj64ELj2EllaaffEEv20rocsparse_direction_T3_S2_llNS_24const_host_device_scalarIT7_EEPKT2_PKS2_PKT4_PKT5_llS5_PT6_ll16rocsparse_order_21rocsparse_index_base_b
    .private_segment_fixed_size: 0
    .sgpr_count:     28
    .sgpr_spill_count: 0
    .symbol:         _ZN9rocsparseL29bsrmmnt_small_blockdim_kernelILj64ELj64ELj2EllaaffEEv20rocsparse_direction_T3_S2_llNS_24const_host_device_scalarIT7_EEPKT2_PKS2_PKT4_PKT5_llS5_PT6_ll16rocsparse_order_21rocsparse_index_base_b.kd
    .uniform_work_group_size: 1
    .uses_dynamic_stack: false
    .vgpr_count:     32
    .vgpr_spill_count: 0
    .wavefront_size: 32
amdhsa.target:   amdgcn-amd-amdhsa--gfx1250
amdhsa.version:
  - 1
  - 2
...

	.end_amdgpu_metadata
